;; amdgpu-corpus repo=ROCm/rocFFT kind=compiled arch=gfx906 opt=O3
	.text
	.amdgcn_target "amdgcn-amd-amdhsa--gfx906"
	.amdhsa_code_object_version 6
	.protected	bluestein_single_back_len1547_dim1_sp_op_CI_CI ; -- Begin function bluestein_single_back_len1547_dim1_sp_op_CI_CI
	.globl	bluestein_single_back_len1547_dim1_sp_op_CI_CI
	.p2align	8
	.type	bluestein_single_back_len1547_dim1_sp_op_CI_CI,@function
bluestein_single_back_len1547_dim1_sp_op_CI_CI: ; @bluestein_single_back_len1547_dim1_sp_op_CI_CI
; %bb.0:
	s_load_dwordx4 s[0:3], s[4:5], 0x28
	v_mul_u32_u24_e32 v1, 0x227, v0
	v_add_u32_sdwa v92, s6, v1 dst_sel:DWORD dst_unused:UNUSED_PAD src0_sel:DWORD src1_sel:WORD_1
	v_mov_b32_e32 v93, 0
	s_waitcnt lgkmcnt(0)
	v_cmp_gt_u64_e32 vcc, s[0:1], v[92:93]
	s_and_saveexec_b64 s[0:1], vcc
	s_cbranch_execz .LBB0_23
; %bb.1:
	s_load_dwordx2 s[8:9], s[4:5], 0x0
	s_load_dwordx2 s[10:11], s[4:5], 0x38
	s_movk_i32 s0, 0x77
	v_mul_lo_u16_sdwa v1, v1, s0 dst_sel:DWORD dst_unused:UNUSED_PAD src0_sel:WORD_1 src1_sel:DWORD
	v_sub_u16_e32 v98, v0, v1
	s_movk_i32 s0, 0x5b
	v_cmp_gt_u16_e64 s[0:1], s0, v98
	v_lshlrev_b32_e32 v97, 3, v98
	s_and_saveexec_b64 s[6:7], s[0:1]
	s_cbranch_execz .LBB0_3
; %bb.2:
	s_load_dwordx2 s[12:13], s[4:5], 0x18
	s_waitcnt lgkmcnt(0)
	s_load_dwordx4 s[12:15], s[12:13], 0x0
	s_waitcnt lgkmcnt(0)
	v_mad_u64_u32 v[0:1], s[16:17], s14, v92, 0
	v_mad_u64_u32 v[2:3], s[16:17], s12, v98, 0
	;; [unrolled: 1-line block ×4, first 2 shown]
	v_mov_b32_e32 v1, v4
	v_lshlrev_b64 v[0:1], 3, v[0:1]
	v_mov_b32_e32 v3, v5
	v_mov_b32_e32 v6, s3
	v_lshlrev_b64 v[2:3], 3, v[2:3]
	v_add_co_u32_e32 v0, vcc, s2, v0
	v_addc_co_u32_e32 v1, vcc, v6, v1, vcc
	v_add_co_u32_e32 v0, vcc, v0, v2
	v_addc_co_u32_e32 v1, vcc, v1, v3, vcc
	v_mov_b32_e32 v2, s9
	v_add_co_u32_e32 v52, vcc, s8, v97
	s_mul_i32 s2, s13, 0x2d8
	s_mul_hi_u32 s3, s12, 0x2d8
	v_addc_co_u32_e32 v53, vcc, 0, v2, vcc
	s_add_i32 s2, s3, s2
	s_mul_i32 s3, s12, 0x2d8
	v_mov_b32_e32 v3, s2
	v_add_co_u32_e32 v2, vcc, s3, v0
	v_addc_co_u32_e32 v3, vcc, v1, v3, vcc
	v_mov_b32_e32 v5, s2
	v_add_co_u32_e32 v4, vcc, s3, v2
	v_addc_co_u32_e32 v5, vcc, v3, v5, vcc
	v_mov_b32_e32 v7, s2
	v_add_co_u32_e32 v6, vcc, s3, v4
	v_addc_co_u32_e32 v7, vcc, v5, v7, vcc
	global_load_dwordx2 v[8:9], v[0:1], off
	global_load_dwordx2 v[10:11], v[2:3], off
	;; [unrolled: 1-line block ×4, first 2 shown]
	global_load_dwordx2 v[16:17], v97, s[8:9]
	global_load_dwordx2 v[18:19], v97, s[8:9] offset:728
	global_load_dwordx2 v[20:21], v97, s[8:9] offset:1456
	;; [unrolled: 1-line block ×3, first 2 shown]
	v_mov_b32_e32 v1, s2
	v_add_co_u32_e32 v0, vcc, s3, v6
	v_addc_co_u32_e32 v1, vcc, v7, v1, vcc
	global_load_dwordx2 v[2:3], v[0:1], off
	v_mov_b32_e32 v4, s2
	v_add_co_u32_e32 v0, vcc, s3, v0
	v_addc_co_u32_e32 v1, vcc, v1, v4, vcc
	global_load_dwordx2 v[4:5], v[0:1], off
	global_load_dwordx2 v[6:7], v97, s[8:9] offset:2912
	global_load_dwordx2 v[24:25], v97, s[8:9] offset:3640
	v_mov_b32_e32 v26, s2
	v_add_co_u32_e32 v0, vcc, s3, v0
	v_addc_co_u32_e32 v1, vcc, v1, v26, vcc
	s_movk_i32 s12, 0x1000
	v_add_co_u32_e32 v28, vcc, s12, v52
	v_addc_co_u32_e32 v29, vcc, 0, v53, vcc
	global_load_dwordx2 v[26:27], v[0:1], off
	v_mov_b32_e32 v30, s2
	v_add_co_u32_e32 v0, vcc, s3, v0
	v_addc_co_u32_e32 v1, vcc, v1, v30, vcc
	global_load_dwordx2 v[30:31], v[0:1], off
	v_mov_b32_e32 v32, s2
	;; [unrolled: 4-line block ×3, first 2 shown]
	v_add_co_u32_e32 v0, vcc, s3, v0
	v_addc_co_u32_e32 v1, vcc, v1, v34, vcc
	global_load_dwordx2 v[34:35], v[0:1], off
	global_load_dwordx2 v[36:37], v[28:29], off offset:272
	global_load_dwordx2 v[38:39], v[28:29], off offset:1000
	;; [unrolled: 1-line block ×4, first 2 shown]
	v_mov_b32_e32 v44, s2
	v_add_co_u32_e32 v0, vcc, s3, v0
	v_addc_co_u32_e32 v1, vcc, v1, v44, vcc
	global_load_dwordx2 v[44:45], v[0:1], off
	v_mov_b32_e32 v46, s2
	v_add_co_u32_e32 v0, vcc, s3, v0
	v_addc_co_u32_e32 v1, vcc, v1, v46, vcc
	global_load_dwordx2 v[46:47], v[0:1], off
	global_load_dwordx2 v[48:49], v[28:29], off offset:3184
	global_load_dwordx2 v[50:51], v[28:29], off offset:3912
	v_mov_b32_e32 v28, s2
	v_add_co_u32_e32 v0, vcc, s3, v0
	v_addc_co_u32_e32 v1, vcc, v1, v28, vcc
	s_movk_i32 s12, 0x2000
	v_add_co_u32_e32 v52, vcc, s12, v52
	v_addc_co_u32_e32 v53, vcc, 0, v53, vcc
	global_load_dwordx2 v[28:29], v[0:1], off
	v_mov_b32_e32 v56, s2
	v_add_co_u32_e32 v0, vcc, s3, v0
	v_addc_co_u32_e32 v1, vcc, v1, v56, vcc
	global_load_dwordx2 v[56:57], v[0:1], off
	v_mov_b32_e32 v58, s2
	v_add_co_u32_e32 v0, vcc, s3, v0
	v_addc_co_u32_e32 v1, vcc, v1, v58, vcc
	global_load_dwordx2 v[54:55], v[52:53], off offset:544
	global_load_dwordx2 v[58:59], v[52:53], off offset:1272
	global_load_dwordx2 v[60:61], v[0:1], off
	global_load_dwordx2 v[62:63], v[52:53], off offset:2000
	v_mov_b32_e32 v64, s2
	v_add_co_u32_e32 v0, vcc, s3, v0
	v_addc_co_u32_e32 v1, vcc, v1, v64, vcc
	global_load_dwordx2 v[64:65], v[0:1], off
	global_load_dwordx2 v[66:67], v[52:53], off offset:2728
	v_mov_b32_e32 v68, s2
	v_add_co_u32_e32 v0, vcc, s3, v0
	v_addc_co_u32_e32 v1, vcc, v1, v68, vcc
	global_load_dwordx2 v[68:69], v[0:1], off
	global_load_dwordx2 v[70:71], v[52:53], off offset:3456
	s_waitcnt vmcnt(29)
	v_mul_f32_e32 v0, v9, v17
	v_mul_f32_e32 v1, v8, v17
	v_fmac_f32_e32 v0, v8, v16
	v_fma_f32 v1, v9, v16, -v1
	s_waitcnt vmcnt(28)
	v_mul_f32_e32 v8, v11, v19
	v_mul_f32_e32 v9, v10, v19
	v_fmac_f32_e32 v8, v10, v18
	v_fma_f32 v9, v11, v18, -v9
	ds_write2_b64 v97, v[0:1], v[8:9] offset1:91
	s_waitcnt vmcnt(27)
	v_mul_f32_e32 v0, v13, v21
	v_mul_f32_e32 v1, v12, v21
	s_waitcnt vmcnt(26)
	v_mul_f32_e32 v8, v15, v23
	v_mul_f32_e32 v9, v14, v23
	v_fmac_f32_e32 v0, v12, v20
	v_fma_f32 v1, v13, v20, -v1
	v_fmac_f32_e32 v8, v14, v22
	v_fma_f32 v9, v15, v22, -v9
	v_add_u32_e32 v10, 0x400, v97
	ds_write2_b64 v10, v[0:1], v[8:9] offset0:54 offset1:145
	s_waitcnt vmcnt(23)
	v_mul_f32_e32 v0, v3, v7
	v_mul_f32_e32 v1, v2, v7
	v_fmac_f32_e32 v0, v2, v6
	v_fma_f32 v1, v3, v6, -v1
	s_waitcnt vmcnt(22)
	v_mul_f32_e32 v2, v5, v25
	v_mul_f32_e32 v3, v4, v25
	v_fmac_f32_e32 v2, v4, v24
	v_fma_f32 v3, v5, v24, -v3
	v_add_u32_e32 v4, 0x800, v97
	ds_write2_b64 v4, v[0:1], v[2:3] offset0:108 offset1:199
	s_waitcnt vmcnt(17)
	v_mul_f32_e32 v0, v27, v37
	v_mul_f32_e32 v1, v26, v37
	s_waitcnt vmcnt(16)
	v_mul_f32_e32 v2, v31, v39
	v_mul_f32_e32 v3, v30, v39
	v_fmac_f32_e32 v0, v26, v36
	v_fma_f32 v1, v27, v36, -v1
	v_fmac_f32_e32 v2, v30, v38
	v_fma_f32 v3, v31, v38, -v3
	v_add_u32_e32 v4, 0x1000, v97
	ds_write2_b64 v4, v[0:1], v[2:3] offset0:34 offset1:125
	s_waitcnt vmcnt(15)
	v_mul_f32_e32 v0, v33, v41
	v_mul_f32_e32 v1, v32, v41
	s_waitcnt vmcnt(14)
	v_mul_f32_e32 v2, v35, v43
	v_mul_f32_e32 v3, v34, v43
	v_fmac_f32_e32 v0, v32, v40
	v_fma_f32 v1, v33, v40, -v1
	;; [unrolled: 12-line block ×3, first 2 shown]
	v_fmac_f32_e32 v2, v46, v50
	v_fma_f32 v3, v47, v50, -v3
	v_add_u32_e32 v4, 0x1800, v97
	ds_write2_b64 v4, v[0:1], v[2:3] offset0:142 offset1:233
	v_add_u32_e32 v4, 0x2000, v97
	s_waitcnt vmcnt(6)
	v_mul_f32_e32 v2, v57, v59
	v_mul_f32_e32 v0, v29, v55
	;; [unrolled: 1-line block ×4, first 2 shown]
	v_fmac_f32_e32 v0, v28, v54
	v_fma_f32 v1, v29, v54, -v1
	v_fmac_f32_e32 v2, v56, v58
	v_fma_f32 v3, v57, v58, -v3
	ds_write2_b64 v4, v[0:1], v[2:3] offset0:68 offset1:159
	s_waitcnt vmcnt(4)
	v_mul_f32_e32 v0, v61, v63
	v_mul_f32_e32 v1, v60, v63
	s_waitcnt vmcnt(2)
	v_mul_f32_e32 v2, v65, v67
	v_mul_f32_e32 v3, v64, v67
	v_fmac_f32_e32 v0, v60, v62
	v_fma_f32 v1, v61, v62, -v1
	v_fmac_f32_e32 v2, v64, v66
	v_fma_f32 v3, v65, v66, -v3
	v_add_u32_e32 v4, 0x2400, v97
	ds_write2_b64 v4, v[0:1], v[2:3] offset0:122 offset1:213
	s_waitcnt vmcnt(0)
	v_mul_f32_e32 v0, v69, v71
	v_mul_f32_e32 v1, v68, v71
	v_fmac_f32_e32 v0, v68, v70
	v_fma_f32 v1, v69, v70, -v1
	ds_write_b64 v97, v[0:1] offset:11648
.LBB0_3:
	s_or_b64 exec, exec, s[6:7]
	v_mov_b32_e32 v4, 0
	v_mov_b32_e32 v5, 0
	s_waitcnt lgkmcnt(0)
	s_barrier
	s_waitcnt lgkmcnt(0)
                                        ; implicit-def: $vgpr8
                                        ; implicit-def: $vgpr28
                                        ; implicit-def: $vgpr32
                                        ; implicit-def: $vgpr36
                                        ; implicit-def: $vgpr26
                                        ; implicit-def: $vgpr22
                                        ; implicit-def: $vgpr18
                                        ; implicit-def: $vgpr14
	s_and_saveexec_b64 s[2:3], s[0:1]
	s_cbranch_execz .LBB0_5
; %bb.4:
	v_add_u32_e32 v0, 0x400, v97
	ds_read2_b64 v[12:15], v0 offset0:54 offset1:145
	v_add_u32_e32 v0, 0x800, v97
	ds_read2_b64 v[16:19], v0 offset0:108 offset1:199
	;; [unrolled: 2-line block ×6, first 2 shown]
	v_add_u32_e32 v0, 0x2400, v97
	ds_read2_b64 v[4:7], v97 offset1:91
	ds_read2_b64 v[32:35], v0 offset0:122 offset1:213
	ds_read_b64 v[36:37], v97 offset:11648
.LBB0_5:
	s_or_b64 exec, exec, s[2:3]
	s_waitcnt lgkmcnt(0)
	v_sub_f32_e32 v51, v7, v37
	v_mul_f32_e32 v38, 0xbeb8f4ab, v51
	v_sub_f32_e32 v53, v13, v35
	v_add_f32_e32 v60, v36, v6
	v_sub_f32_e32 v50, v6, v36
	v_mov_b32_e32 v0, v38
	v_mul_f32_e32 v54, 0xbf2c7751, v53
	v_add_f32_e32 v61, v37, v7
	s_mov_b32 s3, 0x3f6eb680
	v_mul_f32_e32 v39, 0xbeb8f4ab, v50
	v_fmac_f32_e32 v0, 0x3f6eb680, v60
	v_add_f32_e32 v64, v34, v12
	v_sub_f32_e32 v52, v12, v34
	v_mov_b32_e32 v2, v54
	v_add_f32_e32 v0, v0, v4
	v_fma_f32 v1, v61, s3, -v39
	s_mov_b32 s6, 0x3f3d2fb0
	v_add_f32_e32 v65, v35, v13
	v_mul_f32_e32 v55, 0xbf2c7751, v52
	v_fmac_f32_e32 v2, 0x3f3d2fb0, v64
	v_sub_f32_e32 v78, v15, v33
	v_add_f32_e32 v1, v1, v5
	v_add_f32_e32 v0, v2, v0
	v_fma_f32 v2, v65, s6, -v55
	v_mul_f32_e32 v56, 0xbf65296c, v78
	v_add_f32_e32 v1, v2, v1
	v_add_f32_e32 v68, v32, v14
	v_sub_f32_e32 v77, v14, v32
	v_mov_b32_e32 v2, v56
	s_mov_b32 s7, 0x3ee437d1
	v_add_f32_e32 v69, v33, v15
	v_mul_f32_e32 v57, 0xbf65296c, v77
	v_fmac_f32_e32 v2, 0x3ee437d1, v68
	v_sub_f32_e32 v91, v17, v31
	v_add_f32_e32 v0, v2, v0
	v_fma_f32 v2, v69, s7, -v57
	v_mul_f32_e32 v58, 0xbf7ee86f, v91
	v_add_f32_e32 v1, v2, v1
	v_add_f32_e32 v72, v30, v16
	v_sub_f32_e32 v90, v16, v30
	v_mov_b32_e32 v2, v58
	s_mov_b32 s2, 0x3dbcf732
	v_add_f32_e32 v73, v31, v17
	v_mul_f32_e32 v59, 0xbf7ee86f, v90
	v_fmac_f32_e32 v2, 0x3dbcf732, v72
	v_sub_f32_e32 v110, v19, v29
	;; [unrolled: 12-line block ×5, first 2 shown]
	v_add_f32_e32 v0, v2, v0
	v_fma_f32 v2, v107, s14, -v71
	v_mul_f32_e32 v74, 0xbe3c28d5, v179
	v_add_f32_e32 v1, v2, v1
	v_add_f32_e32 v117, v26, v24
	v_mov_b32_e32 v2, v74
	v_sub_f32_e32 v180, v24, v26
	s_mov_b32 s15, 0xbf7ba420
	v_fmac_f32_e32 v2, 0xbf7ba420, v117
	v_add_f32_e32 v120, v27, v25
	v_mul_f32_e32 v79, 0xbe3c28d5, v180
	v_add_f32_e32 v93, v2, v0
	v_fma_f32 v0, v120, s15, -v79
	v_mul_f32_e32 v80, 0xbf2c7751, v51
	v_add_f32_e32 v94, v0, v1
	v_mov_b32_e32 v0, v80
	v_mul_f32_e32 v81, 0xbf7ee86f, v53
	v_fmac_f32_e32 v0, 0x3f3d2fb0, v60
	v_mov_b32_e32 v1, v81
	v_add_f32_e32 v0, v0, v4
	v_fmac_f32_e32 v1, 0x3dbcf732, v64
	v_mul_f32_e32 v87, 0xbf2c7751, v50
	v_add_f32_e32 v0, v1, v0
	v_fma_f32 v1, v61, s6, -v87
	v_mul_f32_e32 v88, 0xbf7ee86f, v52
	v_add_f32_e32 v1, v1, v5
	v_fma_f32 v2, v65, s2, -v88
	v_mul_f32_e32 v82, 0xbf4c4adb, v78
	v_add_f32_e32 v1, v2, v1
	v_mov_b32_e32 v2, v82
	v_fmac_f32_e32 v2, 0xbf1a4643, v68
	v_mul_f32_e32 v95, 0xbf4c4adb, v77
	v_add_f32_e32 v0, v2, v0
	v_fma_f32 v2, v69, s13, -v95
	v_mul_f32_e32 v83, 0xbe3c28d5, v91
	v_add_f32_e32 v1, v2, v1
	v_mov_b32_e32 v2, v83
	v_fmac_f32_e32 v2, 0xbf7ba420, v72
	;; [unrolled: 7-line block ×6, first 2 shown]
	v_mul_f32_e32 v105, 0x3eb8f4ab, v180
	v_mul_f32_e32 v108, 0xbf65296c, v51
	v_fma_f32 v3, v120, s3, -v105
	v_add_f32_e32 v2, v2, v0
	v_mov_b32_e32 v0, v108
	v_mul_f32_e32 v109, 0xbf4c4adb, v53
	v_add_f32_e32 v3, v3, v1
	v_fmac_f32_e32 v0, 0x3ee437d1, v60
	v_mov_b32_e32 v1, v109
	v_add_f32_e32 v0, v0, v4
	v_fmac_f32_e32 v1, 0xbf1a4643, v64
	v_mul_f32_e32 v111, 0x3e3c28d5, v78
	v_add_f32_e32 v0, v1, v0
	v_mov_b32_e32 v1, v111
	v_fmac_f32_e32 v1, 0xbf7ba420, v68
	v_mul_f32_e32 v112, 0x3f763a35, v91
	v_add_f32_e32 v0, v1, v0
	v_mov_b32_e32 v1, v112
	;; [unrolled: 4-line block ×6, first 2 shown]
	v_fmac_f32_e32 v1, 0xbf59a7d5, v117
	v_mul_f32_e32 v118, 0xbf65296c, v50
	v_add_f32_e32 v0, v1, v0
	v_fma_f32 v1, v61, s7, -v118
	v_mul_f32_e32 v119, 0xbf4c4adb, v52
	v_add_f32_e32 v1, v1, v5
	v_fma_f32 v40, v65, s13, -v119
	;; [unrolled: 3-line block ×8, first 2 shown]
	v_mul_f32_e32 v129, 0xbf7ee86f, v51
	v_add_f32_e32 v1, v40, v1
	v_mov_b32_e32 v40, v129
	v_mul_f32_e32 v130, 0xbe3c28d5, v53
	v_fmac_f32_e32 v40, 0x3dbcf732, v60
	v_mov_b32_e32 v41, v130
	v_add_f32_e32 v40, v40, v4
	v_fmac_f32_e32 v41, 0xbf7ba420, v64
	v_mul_f32_e32 v134, 0xbf7ee86f, v50
	v_add_f32_e32 v40, v41, v40
	v_fma_f32 v41, v61, s2, -v134
	v_mul_f32_e32 v135, 0xbe3c28d5, v52
	v_add_f32_e32 v41, v41, v5
	v_fma_f32 v42, v65, s15, -v135
	v_mul_f32_e32 v131, 0x3f763a35, v78
	v_add_f32_e32 v41, v42, v41
	v_mov_b32_e32 v42, v131
	v_fmac_f32_e32 v42, 0xbe8c1d8e, v68
	v_mul_f32_e32 v137, 0x3f763a35, v77
	v_add_f32_e32 v40, v42, v40
	v_fma_f32 v42, v69, s12, -v137
	v_mul_f32_e32 v132, 0x3eb8f4ab, v91
	v_add_f32_e32 v41, v42, v41
	v_mov_b32_e32 v42, v132
	v_fmac_f32_e32 v42, 0x3f6eb680, v72
	v_mul_f32_e32 v139, 0x3eb8f4ab, v90
	v_add_f32_e32 v40, v42, v40
	v_fma_f32 v42, v73, s3, -v139
	v_mul_f32_e32 v133, 0xbf65296c, v110
	v_add_f32_e32 v41, v42, v41
	v_mov_b32_e32 v42, v133
	v_fmac_f32_e32 v42, 0x3ee437d1, v75
	v_mul_f32_e32 v141, 0xbf65296c, v99
	v_add_f32_e32 v40, v42, v40
	v_fma_f32 v42, v76, s7, -v141
	v_mul_f32_e32 v136, 0xbf06c442, v128
	v_add_f32_e32 v41, v42, v41
	v_mov_b32_e32 v42, v136
	v_fmac_f32_e32 v42, 0xbf59a7d5, v84
	v_mul_f32_e32 v142, 0xbf06c442, v127
	v_add_f32_e32 v40, v42, v40
	v_fma_f32 v42, v85, s14, -v142
	v_mul_f32_e32 v138, 0x3f4c4adb, v178
	v_add_f32_e32 v41, v42, v41
	v_mov_b32_e32 v42, v138
	v_fmac_f32_e32 v42, 0xbf1a4643, v106
	v_mul_f32_e32 v143, 0x3f4c4adb, v177
	v_add_f32_e32 v40, v42, v40
	v_fma_f32 v42, v107, s13, -v143
	v_mul_f32_e32 v140, 0x3f2c7751, v179
	v_add_f32_e32 v41, v42, v41
	v_mov_b32_e32 v42, v140
	v_fmac_f32_e32 v42, 0x3f3d2fb0, v117
	v_mul_f32_e32 v144, 0x3f2c7751, v180
	v_add_f32_e32 v40, v42, v40
	v_fma_f32 v42, v120, s6, -v144
	v_mul_f32_e32 v145, 0xbf763a35, v51
	v_add_f32_e32 v41, v42, v41
	v_mov_b32_e32 v42, v145
	v_mul_f32_e32 v146, 0x3f06c442, v53
	v_fmac_f32_e32 v42, 0xbe8c1d8e, v60
	v_mov_b32_e32 v43, v146
	v_add_f32_e32 v42, v42, v4
	v_fmac_f32_e32 v43, 0xbf59a7d5, v64
	v_mul_f32_e32 v150, 0xbf763a35, v50
	v_add_f32_e32 v42, v43, v42
	v_fma_f32 v43, v61, s12, -v150
	v_mul_f32_e32 v151, 0x3f06c442, v52
	v_add_f32_e32 v43, v43, v5
	v_fma_f32 v44, v65, s14, -v151
	v_mul_f32_e32 v147, 0x3f2c7751, v78
	v_add_f32_e32 v43, v44, v43
	v_mov_b32_e32 v44, v147
	v_fmac_f32_e32 v44, 0x3f3d2fb0, v68
	v_mul_f32_e32 v153, 0x3f2c7751, v77
	v_add_f32_e32 v42, v44, v42
	v_fma_f32 v44, v69, s6, -v153
	v_mul_f32_e32 v148, 0xbf65296c, v91
	v_add_f32_e32 v43, v44, v43
	v_mov_b32_e32 v44, v148
	v_fmac_f32_e32 v44, 0x3ee437d1, v72
	v_mul_f32_e32 v155, 0xbf65296c, v90
	v_add_f32_e32 v42, v44, v42
	v_fma_f32 v44, v73, s7, -v155
	v_mul_f32_e32 v149, 0xbe3c28d5, v110
	v_add_f32_e32 v43, v44, v43
	v_mov_b32_e32 v44, v149
	v_fmac_f32_e32 v44, 0xbf7ba420, v75
	v_mul_f32_e32 v157, 0xbe3c28d5, v99
	v_add_f32_e32 v42, v44, v42
	v_fma_f32 v44, v76, s15, -v157
	v_mul_f32_e32 v152, 0x3f7ee86f, v128
	v_add_f32_e32 v43, v44, v43
	v_mov_b32_e32 v44, v152
	v_fmac_f32_e32 v44, 0x3dbcf732, v84
	v_mul_f32_e32 v158, 0x3f7ee86f, v127
	v_add_f32_e32 v42, v44, v42
	v_fma_f32 v44, v85, s2, -v158
	v_mul_f32_e32 v154, 0xbeb8f4ab, v178
	v_add_f32_e32 v43, v44, v43
	v_mov_b32_e32 v44, v154
	v_fmac_f32_e32 v44, 0x3f6eb680, v106
	v_mul_f32_e32 v159, 0xbeb8f4ab, v177
	v_add_f32_e32 v42, v44, v42
	v_fma_f32 v44, v107, s3, -v159
	v_mul_f32_e32 v156, 0xbf4c4adb, v179
	v_add_f32_e32 v43, v44, v43
	v_mov_b32_e32 v44, v156
	v_fmac_f32_e32 v44, 0xbf1a4643, v117
	v_mul_f32_e32 v160, 0xbf4c4adb, v180
	v_add_f32_e32 v44, v44, v42
	v_fma_f32 v42, v120, s13, -v160
	;; [unrolled: 56-line block ×3, first 2 shown]
	v_mul_f32_e32 v48, 0xbf06c442, v51
	v_add_f32_e32 v47, v42, v43
	v_fma_f32 v42, v60, s14, -v48
	v_mul_f32_e32 v49, 0x3f65296c, v53
	v_add_f32_e32 v42, v42, v4
	v_fma_f32 v43, v64, s7, -v49
	v_mul_f32_e32 v181, 0xbf06c442, v50
	v_add_f32_e32 v42, v43, v42
	v_mov_b32_e32 v43, v181
	v_mul_f32_e32 v182, 0x3f65296c, v52
	v_fmac_f32_e32 v43, 0xbf59a7d5, v61
	v_mov_b32_e32 v183, v182
	v_add_f32_e32 v43, v43, v5
	v_fmac_f32_e32 v183, 0x3ee437d1, v65
	v_add_f32_e32 v43, v183, v43
	v_mul_f32_e32 v183, 0xbf7ee86f, v78
	v_fma_f32 v184, v68, s2, -v183
	v_add_f32_e32 v42, v184, v42
	v_mul_f32_e32 v184, 0xbf7ee86f, v77
	v_mov_b32_e32 v185, v184
	v_fmac_f32_e32 v185, 0x3dbcf732, v69
	v_add_f32_e32 v43, v185, v43
	v_mul_f32_e32 v185, 0x3f4c4adb, v91
	v_fma_f32 v186, v72, s13, -v185
	v_add_f32_e32 v42, v186, v42
	v_mul_f32_e32 v186, 0x3f4c4adb, v90
	v_mov_b32_e32 v187, v186
	;; [unrolled: 7-line block ×4, first 2 shown]
	v_fmac_f32_e32 v191, 0xbf7ba420, v85
	v_fmac_f32_e32 v48, 0xbf59a7d5, v60
	v_add_f32_e32 v43, v191, v43
	v_mul_f32_e32 v191, 0x3f2c7751, v178
	v_add_f32_e32 v48, v48, v4
	v_fmac_f32_e32 v49, 0x3ee437d1, v64
	v_fma_f32 v192, v106, s6, -v191
	v_add_f32_e32 v48, v49, v48
	v_fma_f32 v49, v61, s14, -v181
	v_add_f32_e32 v42, v192, v42
	v_mul_f32_e32 v192, 0x3f2c7751, v177
	v_add_f32_e32 v49, v49, v5
	v_fma_f32 v181, v65, s7, -v182
	v_mov_b32_e32 v193, v192
	v_add_f32_e32 v49, v181, v49
	v_fma_f32 v181, v69, s2, -v184
	v_fmac_f32_e32 v193, 0x3f3d2fb0, v107
	v_add_f32_e32 v49, v181, v49
	v_fma_f32 v181, v73, s13, -v186
	v_add_f32_e32 v43, v193, v43
	v_mul_f32_e32 v193, 0xbf763a35, v179
	v_add_f32_e32 v49, v181, v49
	v_fma_f32 v181, v76, s3, -v188
	v_fma_f32 v194, v117, s12, -v193
	v_add_f32_e32 v49, v181, v49
	v_fma_f32 v181, v85, s15, -v190
	v_add_f32_e32 v42, v194, v42
	v_mul_f32_e32 v194, 0xbf763a35, v180
	v_add_f32_e32 v49, v181, v49
	v_fma_f32 v181, v107, s6, -v192
	v_add_f32_e32 v49, v181, v49
	v_fma_f32 v181, v120, s12, -v194
	v_add_f32_e32 v49, v181, v49
	v_mul_f32_e32 v181, 0xbe3c28d5, v51
	v_fma_f32 v51, v60, s15, -v181
	v_mul_f32_e32 v53, 0x3eb8f4ab, v53
	v_add_f32_e32 v51, v51, v4
	v_fma_f32 v182, v64, s3, -v53
	v_add_f32_e32 v51, v182, v51
	v_mul_f32_e32 v182, 0xbe3c28d5, v50
	v_fmac_f32_e32 v183, 0x3dbcf732, v68
	v_mov_b32_e32 v50, v182
	v_mul_f32_e32 v52, 0x3eb8f4ab, v52
	v_add_f32_e32 v48, v183, v48
	v_fmac_f32_e32 v50, 0xbf7ba420, v61
	v_mov_b32_e32 v183, v52
	v_add_f32_e32 v50, v50, v5
	v_fmac_f32_e32 v183, 0x3f6eb680, v65
	v_mul_f32_e32 v78, 0xbf06c442, v78
	v_add_f32_e32 v50, v183, v50
	v_fma_f32 v183, v68, s14, -v78
	v_mul_f32_e32 v77, 0xbf06c442, v77
	v_add_f32_e32 v51, v183, v51
	v_mov_b32_e32 v183, v77
	v_fmac_f32_e32 v183, 0xbf59a7d5, v69
	v_mul_f32_e32 v91, 0x3f2c7751, v91
	v_add_f32_e32 v50, v183, v50
	v_fma_f32 v183, v72, s6, -v91
	v_mul_f32_e32 v90, 0x3f2c7751, v90
	v_add_f32_e32 v51, v183, v51
	v_mov_b32_e32 v183, v90
	v_fmac_f32_e32 v183, 0x3f3d2fb0, v73
	v_mul_f32_e32 v110, 0xbf4c4adb, v110
	v_add_f32_e32 v50, v183, v50
	v_fma_f32 v183, v75, s13, -v110
	v_mul_f32_e32 v99, 0xbf4c4adb, v99
	v_fmac_f32_e32 v181, 0xbf7ba420, v60
	v_add_f32_e32 v51, v183, v51
	v_mov_b32_e32 v183, v99
	v_add_f32_e32 v181, v181, v4
	v_fmac_f32_e32 v53, 0x3f6eb680, v64
	v_fmac_f32_e32 v183, 0xbf1a4643, v76
	v_mul_f32_e32 v128, 0x3f65296c, v128
	v_add_f32_e32 v53, v53, v181
	v_fma_f32 v181, v61, s15, -v182
	v_add_f32_e32 v50, v183, v50
	v_fma_f32 v183, v84, s7, -v128
	v_mul_f32_e32 v127, 0x3f65296c, v127
	v_add_f32_e32 v181, v181, v5
	v_fma_f32 v52, v65, s3, -v52
	v_add_f32_e32 v51, v183, v51
	v_mov_b32_e32 v183, v127
	v_add_f32_e32 v52, v52, v181
	v_fma_f32 v77, v69, s14, -v77
	v_fmac_f32_e32 v183, 0x3ee437d1, v85
	v_mul_f32_e32 v178, 0xbf763a35, v178
	v_fmac_f32_e32 v78, 0xbf59a7d5, v68
	v_add_f32_e32 v52, v77, v52
	v_fma_f32 v77, v73, s6, -v90
	v_add_f32_e32 v50, v183, v50
	v_fma_f32 v183, v106, s12, -v178
	v_mul_f32_e32 v177, 0xbf763a35, v177
	v_add_f32_e32 v53, v78, v53
	v_fmac_f32_e32 v91, 0x3f3d2fb0, v72
	v_add_f32_e32 v52, v77, v52
	v_fma_f32 v77, v76, s13, -v99
	v_fmac_f32_e32 v185, 0xbf1a4643, v72
	v_add_f32_e32 v51, v183, v51
	v_mov_b32_e32 v183, v177
	v_add_f32_e32 v53, v91, v53
	v_fmac_f32_e32 v110, 0xbf1a4643, v75
	v_add_f32_e32 v52, v77, v52
	v_fma_f32 v77, v85, s7, -v127
	v_add_f32_e32 v48, v185, v48
	v_fmac_f32_e32 v187, 0x3f6eb680, v75
	v_fmac_f32_e32 v183, 0xbe8c1d8e, v107
	v_mul_f32_e32 v179, 0x3f7ee86f, v179
	v_add_f32_e32 v53, v110, v53
	v_fmac_f32_e32 v128, 0x3ee437d1, v84
	v_add_f32_e32 v52, v77, v52
	v_fma_f32 v77, v107, s12, -v177
	s_load_dwordx2 s[6:7], s[4:5], 0x20
	s_load_dwordx2 s[12:13], s[4:5], 0x8
	v_add_f32_e32 v48, v187, v48
	v_fmac_f32_e32 v189, 0xbf7ba420, v84
	v_add_f32_e32 v183, v183, v50
	v_fma_f32 v50, v117, s2, -v179
	v_mul_f32_e32 v180, 0x3f7ee86f, v180
	v_add_f32_e32 v53, v128, v53
	v_fmac_f32_e32 v178, 0xbe8c1d8e, v106
	v_mov_b32_e32 v195, v194
	v_add_f32_e32 v48, v189, v48
	v_fmac_f32_e32 v191, 0x3f3d2fb0, v106
	v_add_f32_e32 v50, v50, v51
	v_mov_b32_e32 v51, v180
	v_add_f32_e32 v53, v178, v53
	v_fmac_f32_e32 v179, 0x3dbcf732, v117
	v_fmac_f32_e32 v195, 0xbe8c1d8e, v120
	v_add_f32_e32 v48, v191, v48
	v_fmac_f32_e32 v193, 0xbe8c1d8e, v117
	v_fmac_f32_e32 v51, 0x3dbcf732, v120
	v_add_f32_e32 v77, v77, v52
	v_add_f32_e32 v52, v179, v53
	v_fma_f32 v53, v120, s2, -v180
	v_add_f32_e32 v43, v195, v43
	v_add_f32_e32 v48, v193, v48
	;; [unrolled: 1-line block ×4, first 2 shown]
	v_mul_lo_u16_e32 v99, 17, v98
	s_waitcnt lgkmcnt(0)
	s_barrier
	s_and_saveexec_b64 s[2:3], s[0:1]
	s_cbranch_execz .LBB0_7
; %bb.6:
	v_mul_f32_e32 v77, 0x3f6eb680, v60
	v_mul_f32_e32 v90, 0x3f3d2fb0, v60
	;; [unrolled: 1-line block ×18, first 2 shown]
	v_sub_f32_e32 v60, v60, v161
	v_mul_f32_e32 v181, 0x3f3d2fb0, v65
	v_mul_f32_e32 v183, 0x3dbcf732, v65
	;; [unrolled: 1-line block ×12, first 2 shown]
	v_add_f32_e32 v61, v166, v61
	v_add_f32_e32 v60, v60, v4
	v_sub_f32_e32 v64, v64, v162
	v_mul_f32_e32 v191, 0x3ee437d1, v69
	v_mul_f32_e32 v193, 0xbf1a4643, v69
	v_mul_f32_e32 v195, 0xbf7ba420, v69
	v_mul_f32_e32 v197, 0xbe8c1d8e, v69
	v_mul_f32_e32 v199, 0x3f3d2fb0, v69
	v_mul_f32_e32 v69, 0x3f6eb680, v69
	v_mul_f32_e32 v200, 0x3dbcf732, v72
	v_mul_f32_e32 v202, 0xbf7ba420, v72
	v_mul_f32_e32 v204, 0xbe8c1d8e, v72
	v_mul_f32_e32 v206, 0x3f6eb680, v72
	v_mul_f32_e32 v208, 0x3ee437d1, v72
	v_mul_f32_e32 v72, 0xbf59a7d5, v72
	v_add_f32_e32 v61, v61, v5
	v_add_f32_e32 v65, v167, v65
	v_add_f32_e32 v60, v64, v60
	v_sub_f32_e32 v64, v68, v163
	v_mul_f32_e32 v201, 0x3dbcf732, v73
	v_mul_f32_e32 v203, 0xbf7ba420, v73
	v_mul_f32_e32 v205, 0xbe8c1d8e, v73
	v_mul_f32_e32 v207, 0x3f6eb680, v73
	v_mul_f32_e32 v209, 0x3ee437d1, v73
	v_mul_f32_e32 v73, 0xbf59a7d5, v73
	v_mul_f32_e32 v210, 0xbe8c1d8e, v75
	v_mul_f32_e32 v212, 0xbf59a7d5, v75
	v_mul_f32_e32 v214, 0x3f3d2fb0, v75
	v_mul_f32_e32 v216, 0x3ee437d1, v75
	v_mul_f32_e32 v218, 0xbf7ba420, v75
	v_mul_f32_e32 v75, 0x3dbcf732, v75
	v_add_f32_e32 v61, v65, v61
	;; [unrolled: 16-line block ×5, first 2 shown]
	v_add_f32_e32 v65, v174, v85
	v_add_f32_e32 v60, v64, v60
	v_sub_f32_e32 v64, v106, v170
	v_mul_f32_e32 v241, 0xbf7ba420, v120
	v_mul_f32_e32 v243, 0x3f6eb680, v120
	;; [unrolled: 1-line block ×6, first 2 shown]
	v_add_f32_e32 v61, v65, v61
	v_add_f32_e32 v65, v175, v107
	;; [unrolled: 1-line block ×3, first 2 shown]
	v_sub_f32_e32 v64, v117, v172
	v_add_f32_e32 v61, v65, v61
	v_add_f32_e32 v65, v176, v120
	;; [unrolled: 1-line block ×20, first 2 shown]
	v_sub_f32_e32 v64, v178, v145
	v_add_f32_e32 v64, v64, v4
	v_sub_f32_e32 v68, v188, v146
	v_add_f32_e32 v64, v68, v64
	v_sub_f32_e32 v68, v198, v147
	v_add_f32_e32 v64, v68, v64
	v_sub_f32_e32 v68, v208, v148
	v_add_f32_e32 v64, v68, v64
	v_sub_f32_e32 v68, v218, v149
	v_add_f32_e32 v64, v68, v64
	v_sub_f32_e32 v68, v228, v152
	v_add_f32_e32 v64, v68, v64
	v_sub_f32_e32 v68, v238, v154
	v_add_f32_e32 v64, v68, v64
	v_sub_f32_e32 v68, v248, v156
	v_add_f32_e32 v64, v68, v64
	v_add_f32_e32 v68, v134, v177
	v_add_f32_e32 v68, v68, v5
	v_add_f32_e32 v69, v135, v187
	v_add_f32_e32 v68, v69, v68
	v_add_f32_e32 v69, v137, v197
	v_add_f32_e32 v68, v69, v68
	v_add_f32_e32 v69, v139, v207
	v_add_f32_e32 v68, v69, v68
	v_add_f32_e32 v69, v141, v217
	v_add_f32_e32 v68, v69, v68
	v_add_f32_e32 v69, v142, v227
	v_add_f32_e32 v68, v69, v68
	v_add_f32_e32 v69, v143, v237
	v_add_f32_e32 v68, v69, v68
	v_add_f32_e32 v69, v144, v247
	v_add_f32_e32 v69, v69, v68
	v_sub_f32_e32 v68, v128, v129
	v_add_f32_e32 v68, v68, v4
	v_sub_f32_e32 v72, v186, v130
	v_add_f32_e32 v68, v72, v68
	v_sub_f32_e32 v72, v196, v131
	v_add_f32_e32 v68, v72, v68
	v_sub_f32_e32 v72, v206, v132
	v_add_f32_e32 v68, v72, v68
	v_sub_f32_e32 v72, v216, v133
	v_add_f32_e32 v68, v72, v68
	v_sub_f32_e32 v72, v226, v136
	v_add_f32_e32 v68, v72, v68
	v_sub_f32_e32 v72, v236, v138
	v_add_f32_e32 v68, v72, v68
	v_sub_f32_e32 v72, v246, v140
	v_add_f32_e32 v68, v72, v68
	v_add_f32_e32 v72, v118, v127
	v_add_f32_e32 v72, v72, v5
	v_add_f32_e32 v73, v119, v185
	v_add_f32_e32 v72, v73, v72
	v_add_f32_e32 v73, v121, v195
	v_add_f32_e32 v72, v73, v72
	v_add_f32_e32 v73, v122, v205
	v_add_f32_e32 v72, v73, v72
	v_add_f32_e32 v73, v123, v215
	v_add_f32_e32 v72, v73, v72
	v_add_f32_e32 v73, v124, v225
	v_add_f32_e32 v72, v73, v72
	v_add_f32_e32 v73, v125, v235
	v_add_f32_e32 v72, v73, v72
	v_add_f32_e32 v73, v126, v245
	v_add_f32_e32 v73, v73, v72
	;; [unrolled: 32-line block ×3, first 2 shown]
	v_sub_f32_e32 v75, v90, v80
	v_add_f32_e32 v39, v39, v78
	v_sub_f32_e32 v38, v77, v38
	v_add_f32_e32 v75, v75, v4
	v_add_f32_e32 v39, v39, v5
	;; [unrolled: 1-line block ×20, first 2 shown]
	v_sub_f32_e32 v54, v180, v54
	v_add_f32_e32 v5, v27, v5
	v_add_f32_e32 v4, v26, v4
	v_sub_f32_e32 v80, v182, v81
	v_add_f32_e32 v39, v55, v39
	v_add_f32_e32 v55, v57, v191
	v_add_f32_e32 v38, v54, v38
	v_sub_f32_e32 v54, v190, v56
	v_add_f32_e32 v5, v9, v5
	;; [unrolled: 4-line block ×13, first 2 shown]
	v_add_f32_e32 v38, v54, v38
	v_add_f32_e32 v5, v37, v5
	;; [unrolled: 1-line block ×3, first 2 shown]
	v_lshlrev_b32_e32 v6, 3, v99
	v_add_f32_e32 v75, v80, v75
	ds_write2_b64 v6, v[4:5], v[38:39] offset1:1
	ds_write2_b64 v6, v[75:76], v[72:73] offset0:2 offset1:3
	ds_write2_b64 v6, v[68:69], v[64:65] offset0:4 offset1:5
	;; [unrolled: 1-line block ×7, first 2 shown]
	ds_write_b64 v6, v[93:94] offset:128
.LBB0_7:
	s_or_b64 exec, exec, s[2:3]
	v_add_u32_e32 v4, 0xd00, v97
	s_waitcnt lgkmcnt(0)
	s_barrier
	ds_read2_b64 v[32:35], v4 offset0:26 offset1:247
	v_add_u32_e32 v4, 0x1b00, v97
	ds_read2_b64 v[28:31], v97 offset1:221
	ds_read2_b64 v[36:39], v4 offset0:20 offset1:241
	ds_read_b64 v[54:55], v97 offset:10608
	s_movk_i32 s2, 0x66
	v_cmp_gt_u16_e64 s[2:3], s2, v98
	s_and_saveexec_b64 s[4:5], s[2:3]
	s_cbranch_execz .LBB0_9
; %bb.8:
	v_add_u32_e32 v4, 0x1100, v97
	v_add_u32_e32 v12, 0x300, v97
	ds_read2_b64 v[4:7], v4 offset0:17 offset1:238
	v_add_u32_e32 v8, 0x1f00, v97
	ds_read2_b64 v[8:11], v8 offset0:11 offset1:232
	ds_read2_b64 v[12:15], v12 offset0:23 offset1:244
	ds_read_b64 v[40:41], v97 offset:11560
	s_waitcnt lgkmcnt(2)
	v_mov_b32_e32 v44, v10
	v_mov_b32_e32 v48, v6
	;; [unrolled: 1-line block ×8, first 2 shown]
	s_waitcnt lgkmcnt(1)
	v_mov_b32_e32 v50, v14
	v_mov_b32_e32 v51, v15
	;; [unrolled: 1-line block ×4, first 2 shown]
.LBB0_9:
	s_or_b64 exec, exec, s[4:5]
	s_movk_i32 s4, 0xf1
	v_mul_lo_u16_sdwa v4, v98, s4 dst_sel:DWORD dst_unused:UNUSED_PAD src0_sel:BYTE_0 src1_sel:DWORD
	v_lshrrev_b16_e32 v70, 12, v4
	v_add_u16_e32 v5, 0x77, v98
	v_mul_lo_u16_e32 v4, 17, v70
	v_mul_lo_u16_sdwa v6, v5, s4 dst_sel:DWORD dst_unused:UNUSED_PAD src0_sel:BYTE_0 src1_sel:DWORD
	v_sub_u16_e32 v4, v98, v4
	v_lshrrev_b16_e32 v100, 12, v6
	v_and_b32_e32 v71, 0xff, v4
	v_mul_lo_u16_e32 v6, 17, v100
	v_mul_u32_u24_e32 v4, 6, v71
	v_sub_u16_e32 v5, v5, v6
	v_lshlrev_b32_e32 v4, 3, v4
	v_and_b32_e32 v101, 0xff, v5
	global_load_dwordx4 v[20:23], v4, s[12:13]
	global_load_dwordx4 v[16:19], v4, s[12:13] offset:16
	global_load_dwordx4 v[24:27], v4, s[12:13] offset:32
	v_mul_u32_u24_e32 v4, 6, v101
	v_lshlrev_b32_e32 v56, 3, v4
	global_load_dwordx4 v[4:7], v56, s[12:13]
	global_load_dwordx4 v[12:15], v56, s[12:13] offset:16
	global_load_dwordx4 v[8:11], v56, s[12:13] offset:32
	s_mov_b32 s16, 0x3f5ff5aa
	s_mov_b32 s17, 0x3f3bfb3b
	;; [unrolled: 1-line block ×4, first 2 shown]
	s_load_dwordx4 s[4:7], s[6:7], 0x0
	v_mul_u32_u24_e32 v70, 0x77, v70
	v_add_lshl_u32 v102, v70, v71, 3
	s_waitcnt vmcnt(0) lgkmcnt(0)
	s_barrier
	v_mul_f32_e32 v56, v31, v21
	v_mul_f32_e32 v57, v30, v21
	;; [unrolled: 1-line block ×13, first 2 shown]
	v_fma_f32 v30, v30, v20, -v56
	v_fmac_f32_e32 v57, v31, v20
	v_fma_f32 v31, v32, v22, -v58
	v_fma_f32 v32, v34, v16, -v60
	v_fmac_f32_e32 v61, v35, v16
	v_fma_f32 v34, v38, v24, -v64
	v_fma_f32 v35, v54, v26, -v66
	v_mul_f32_e32 v63, v36, v19
	v_mul_f32_e32 v68, v51, v5
	;; [unrolled: 1-line block ×6, first 2 shown]
	v_fmac_f32_e32 v59, v33, v22
	v_fma_f32 v33, v36, v18, -v62
	v_fmac_f32_e32 v65, v39, v24
	v_fmac_f32_e32 v67, v55, v26
	v_fma_f32 v39, v46, v14, -v76
	v_fmac_f32_e32 v81, v41, v10
	v_add_f32_e32 v41, v30, v35
	v_add_f32_e32 v46, v31, v34
	v_mul_f32_e32 v72, v50, v5
	v_mul_f32_e32 v69, v53, v7
	;; [unrolled: 1-line block ×4, first 2 shown]
	v_fmac_f32_e32 v63, v37, v18
	v_fma_f32 v36, v50, v4, -v68
	v_fma_f32 v38, v48, v12, -v74
	v_fmac_f32_e32 v77, v47, v14
	v_fmac_f32_e32 v79, v45, v8
	v_add_f32_e32 v45, v57, v67
	v_add_f32_e32 v47, v59, v65
	v_add_f32_e32 v48, v32, v33
	v_add_f32_e32 v50, v46, v41
	v_mul_f32_e32 v73, v52, v7
	v_fmac_f32_e32 v72, v51, v4
	v_fma_f32 v37, v52, v6, -v69
	v_fmac_f32_e32 v75, v49, v12
	v_sub_f32_e32 v31, v31, v34
	v_add_f32_e32 v49, v61, v63
	v_sub_f32_e32 v32, v33, v32
	v_add_f32_e32 v51, v47, v45
	v_sub_f32_e32 v52, v46, v41
	v_sub_f32_e32 v41, v41, v48
	;; [unrolled: 1-line block ×3, first 2 shown]
	v_add_f32_e32 v48, v48, v50
	v_fmac_f32_e32 v73, v53, v6
	v_sub_f32_e32 v30, v30, v35
	v_sub_f32_e32 v34, v59, v65
	;; [unrolled: 1-line block ×7, first 2 shown]
	v_add_f32_e32 v49, v49, v51
	v_add_f32_e32 v56, v28, v48
	v_sub_f32_e32 v35, v57, v67
	v_add_f32_e32 v54, v32, v31
	v_sub_f32_e32 v59, v33, v34
	v_sub_f32_e32 v31, v31, v30
	v_add_f32_e32 v57, v29, v49
	v_mul_f32_e32 v50, 0xbf08b237, v58
	v_mov_b32_e32 v58, v56
	v_add_f32_e32 v55, v33, v34
	v_sub_f32_e32 v32, v30, v32
	v_sub_f32_e32 v34, v34, v35
	v_add_f32_e32 v30, v54, v30
	v_mul_f32_e32 v28, 0x3f4a47b2, v41
	v_mul_f32_e32 v29, 0x3f4a47b2, v45
	;; [unrolled: 1-line block ×5, first 2 shown]
	v_fmac_f32_e32 v58, 0xbf955555, v48
	v_mov_b32_e32 v48, v57
	v_sub_f32_e32 v33, v35, v33
	v_add_f32_e32 v35, v55, v35
	v_mul_f32_e32 v55, 0x3f5ff5aa, v34
	v_fmac_f32_e32 v48, 0xbf955555, v49
	v_fma_f32 v41, v52, s17, -v41
	v_fma_f32 v49, v52, s18, -v28
	v_fmac_f32_e32 v28, 0x3d64c772, v46
	v_fma_f32 v46, v53, s18, -v29
	v_fma_f32 v31, v31, s16, -v50
	;; [unrolled: 3-line block ×3, first 2 shown]
	v_fma_f32 v44, v44, v8, -v78
	v_fma_f32 v40, v40, v10, -v80
	v_mul_f32_e32 v45, 0x3d64c772, v47
	v_fmac_f32_e32 v29, 0x3d64c772, v47
	v_fmac_f32_e32 v51, 0x3eae86e6, v33
	v_fma_f32 v33, v33, s14, -v55
	v_add_f32_e32 v41, v41, v58
	v_add_f32_e32 v46, v46, v48
	v_fmac_f32_e32 v34, 0x3ee1c552, v35
	v_fmac_f32_e32 v32, 0x3ee1c552, v30
	v_fma_f32 v45, v53, s17, -v45
	v_add_f32_e32 v28, v28, v58
	v_add_f32_e32 v29, v29, v48
	v_fmac_f32_e32 v50, 0x3ee1c552, v30
	v_fmac_f32_e32 v51, 0x3ee1c552, v35
	;; [unrolled: 1-line block ×4, first 2 shown]
	v_sub_f32_e32 v61, v46, v32
	v_sub_f32_e32 v62, v41, v34
	v_add_f32_e32 v64, v34, v41
	v_add_f32_e32 v67, v32, v46
	;; [unrolled: 1-line block ×9, first 2 shown]
	v_sub_f32_e32 v59, v29, v50
	v_sub_f32_e32 v68, v28, v51
	v_add_f32_e32 v69, v50, v29
	v_sub_f32_e32 v36, v36, v40
	v_add_f32_e32 v28, v38, v39
	v_add_f32_e32 v29, v75, v77
	;; [unrolled: 1-line block ×6, first 2 shown]
	v_sub_f32_e32 v65, v45, v31
	v_sub_f32_e32 v66, v47, v33
	;; [unrolled: 1-line block ×7, first 2 shown]
	v_add_f32_e32 v40, v28, v40
	v_add_f32_e32 v41, v29, v41
	v_sub_f32_e32 v44, v30, v28
	v_sub_f32_e32 v45, v34, v29
	;; [unrolled: 1-line block ×4, first 2 shown]
	v_add_f32_e32 v50, v38, v37
	v_add_f32_e32 v51, v39, v33
	v_sub_f32_e32 v48, v38, v37
	v_sub_f32_e32 v49, v39, v33
	;; [unrolled: 1-line block ×4, first 2 shown]
	v_add_f32_e32 v28, v42, v40
	v_add_f32_e32 v29, v43, v41
	v_add_f32_e32 v52, v50, v36
	v_add_f32_e32 v53, v51, v31
	v_mul_f32_e32 v44, 0x3f4a47b2, v44
	v_mul_f32_e32 v50, 0x3f4a47b2, v45
	;; [unrolled: 1-line block ×4, first 2 shown]
	v_mov_b32_e32 v38, v28
	v_mov_b32_e32 v43, v29
	v_fmac_f32_e32 v38, 0xbf955555, v40
	v_fmac_f32_e32 v43, 0xbf955555, v41
	v_mov_b32_e32 v41, v44
	v_mov_b32_e32 v42, v50
	;; [unrolled: 1-line block ×4, first 2 shown]
	v_fmac_f32_e32 v41, 0x3d64c772, v46
	v_fmac_f32_e32 v42, 0x3d64c772, v47
	;; [unrolled: 1-line block ×4, first 2 shown]
	v_add_f32_e32 v41, v41, v38
	v_add_f32_e32 v42, v42, v43
	v_fmac_f32_e32 v39, 0x3ee1c552, v52
	v_fmac_f32_e32 v40, 0x3ee1c552, v53
	v_sub_f32_e32 v54, v41, v40
	v_add_f32_e32 v55, v39, v42
	ds_write2_b64 v102, v[56:57], v[58:59] offset1:17
	ds_write2_b64 v102, v[60:61], v[62:63] offset0:34 offset1:51
	ds_write2_b64 v102, v[64:65], v[66:67] offset0:68 offset1:85
	ds_write_b64 v102, v[68:69] offset:816
	s_and_saveexec_b64 s[14:15], s[2:3]
	s_cbranch_execz .LBB0_11
; %bb.10:
	v_sub_f32_e32 v30, v32, v30
	s_mov_b32 s19, 0xbf5ff5aa
	v_fma_f32 v32, v30, s18, -v44
	v_sub_f32_e32 v44, v33, v31
	v_mul_f32_e32 v47, 0x3d64c772, v47
	v_mul_f32_e32 v53, 0x3ee1c552, v53
	v_sub_f32_e32 v35, v35, v34
	v_fma_f32 v31, v44, s19, -v45
	v_mul_f32_e32 v46, 0x3d64c772, v46
	v_mul_f32_e32 v48, 0xbf08b237, v48
	v_mul_f32_e32 v49, 0xbf08b237, v49
	v_sub_f32_e32 v36, v37, v36
	v_fma_f32 v34, v35, s18, -v50
	v_add_f32_e32 v45, v53, v31
	v_fma_f32 v31, v35, s17, -v47
	v_mul_f32_e32 v52, 0x3ee1c552, v52
	v_fma_f32 v37, v36, s19, -v51
	v_add_f32_e32 v50, v34, v43
	v_add_f32_e32 v35, v31, v43
	v_fma_f32 v31, v36, s16, -v48
	v_fma_f32 v43, v44, s16, -v49
	;; [unrolled: 1-line block ×3, first 2 shown]
	v_add_f32_e32 v37, v52, v37
	v_add_f32_e32 v32, v32, v38
	;; [unrolled: 1-line block ×6, first 2 shown]
	v_sub_f32_e32 v33, v32, v45
	v_sub_f32_e32 v31, v35, v36
	v_add_f32_e32 v30, v43, v38
	v_add_f32_e32 v36, v36, v35
	v_sub_f32_e32 v35, v38, v43
	v_sub_f32_e32 v38, v50, v37
	v_add_f32_e32 v37, v45, v32
	v_mul_u32_u24_e32 v32, 0x77, v100
	v_sub_f32_e32 v42, v42, v39
	v_add_f32_e32 v41, v40, v41
	v_add_lshl_u32 v32, v32, v101, 3
	ds_write2_b64 v32, v[28:29], v[41:42] offset1:17
	ds_write2_b64 v32, v[37:38], v[35:36] offset0:34 offset1:51
	ds_write2_b64 v32, v[30:31], v[33:34] offset0:68 offset1:85
	ds_write_b64 v32, v[54:55] offset:816
.LBB0_11:
	s_or_b64 exec, exec, s[14:15]
	v_mov_b32_e32 v29, s13
	s_movk_i32 s14, 0x60
	v_mov_b32_e32 v28, s12
	v_mad_u64_u32 v[52:53], s[12:13], v98, s14, v[28:29]
	s_waitcnt lgkmcnt(0)
	s_barrier
	global_load_dwordx4 v[44:47], v[52:53], off offset:816
	global_load_dwordx4 v[36:39], v[52:53], off offset:832
	;; [unrolled: 1-line block ×6, first 2 shown]
	ds_read_b64 v[52:53], v97
	ds_read2_b64 v[56:59], v97 offset0:119 offset1:238
	v_add_u32_e32 v84, 0x800, v97
	v_add_u32_e32 v83, 0x1000, v97
	;; [unrolled: 1-line block ×5, first 2 shown]
	ds_read2_b64 v[60:63], v84 offset0:101 offset1:220
	ds_read2_b64 v[64:67], v83 offset0:83 offset1:202
	;; [unrolled: 1-line block ×5, first 2 shown]
	s_mov_b32 s14, 0x3f62ad3f
	s_mov_b32 s13, 0x3f116cb1
	;; [unrolled: 1-line block ×6, first 2 shown]
	s_waitcnt vmcnt(5) lgkmcnt(5)
	v_mul_f32_e32 v85, v57, v45
	v_mul_f32_e32 v87, v59, v47
	v_fma_f32 v85, v56, v44, -v85
	v_mul_f32_e32 v86, v56, v45
	v_mul_f32_e32 v88, v58, v47
	s_waitcnt vmcnt(4) lgkmcnt(4)
	v_mul_f32_e32 v89, v61, v37
	v_fma_f32 v58, v58, v46, -v87
	v_add_f32_e32 v56, v52, v85
	v_mul_f32_e32 v91, v63, v39
	v_fmac_f32_e32 v86, v57, v44
	v_fmac_f32_e32 v88, v59, v46
	v_fma_f32 v59, v60, v36, -v89
	v_add_f32_e32 v56, v56, v58
	v_mul_f32_e32 v90, v60, v37
	s_waitcnt vmcnt(3) lgkmcnt(3)
	v_mul_f32_e32 v96, v65, v33
	v_fma_f32 v60, v62, v38, -v91
	v_add_f32_e32 v57, v53, v86
	v_add_f32_e32 v56, v56, v59
	v_mul_f32_e32 v95, v62, v39
	v_mul_f32_e32 v104, v67, v35
	v_fmac_f32_e32 v90, v61, v36
	v_fma_f32 v61, v64, v32, -v96
	v_add_f32_e32 v57, v57, v88
	v_add_f32_e32 v56, v56, v60
	v_mul_f32_e32 v103, v64, v33
	s_waitcnt vmcnt(2) lgkmcnt(2)
	v_mul_f32_e32 v106, v69, v29
	v_fmac_f32_e32 v95, v63, v38
	v_fma_f32 v62, v66, v34, -v104
	v_add_f32_e32 v57, v57, v90
	v_add_f32_e32 v56, v56, v61
	v_mul_f32_e32 v105, v66, v35
	v_mul_f32_e32 v108, v71, v31
	v_fmac_f32_e32 v103, v65, v32
	v_fma_f32 v63, v68, v28, -v106
	v_add_f32_e32 v57, v57, v95
	v_add_f32_e32 v56, v56, v62
	v_mul_f32_e32 v107, v68, v29
	s_waitcnt vmcnt(1) lgkmcnt(1)
	v_mul_f32_e32 v110, v73, v49
	v_fmac_f32_e32 v105, v67, v34
	;; [unrolled: 13-line block ×3, first 2 shown]
	v_fma_f32 v66, v74, v50, -v112
	v_add_f32_e32 v57, v57, v107
	v_add_f32_e32 v56, v56, v65
	v_mul_f32_e32 v113, v74, v51
	v_mul_f32_e32 v116, v79, v43
	v_fmac_f32_e32 v111, v73, v48
	v_fma_f32 v67, v76, v40, -v114
	v_add_f32_e32 v57, v57, v109
	v_add_f32_e32 v56, v56, v66
	v_mul_f32_e32 v115, v76, v41
	v_fmac_f32_e32 v113, v75, v50
	v_fma_f32 v68, v78, v42, -v116
	v_add_f32_e32 v57, v57, v111
	v_add_f32_e32 v56, v56, v67
	v_mul_f32_e32 v117, v78, v43
	v_fmac_f32_e32 v115, v77, v40
	v_add_f32_e32 v69, v85, v68
	v_add_f32_e32 v57, v57, v113
	v_add_f32_e32 v56, v56, v68
	v_sub_f32_e32 v68, v85, v68
	v_fmac_f32_e32 v117, v79, v42
	v_add_f32_e32 v57, v57, v115
	v_mul_f32_e32 v74, 0xbeedf032, v68
	v_mul_f32_e32 v78, 0xbf52af12, v68
	;; [unrolled: 1-line block ×6, first 2 shown]
	v_add_f32_e32 v70, v86, v117
	v_add_f32_e32 v57, v57, v117
	v_sub_f32_e32 v71, v86, v117
	v_mov_b32_e32 v75, v74
	v_mov_b32_e32 v79, v78
	;; [unrolled: 1-line block ×6, first 2 shown]
	v_fmac_f32_e32 v75, 0x3f62ad3f, v70
	v_fma_f32 v74, v70, s14, -v74
	v_fmac_f32_e32 v79, 0x3f116cb1, v70
	v_fma_f32 v78, v70, s13, -v78
	;; [unrolled: 2-line block ×6, first 2 shown]
	v_mul_f32_e32 v72, 0xbeedf032, v71
	v_add_f32_e32 v75, v53, v75
	v_add_f32_e32 v74, v53, v74
	v_mul_f32_e32 v76, 0xbf52af12, v71
	v_add_f32_e32 v79, v53, v79
	v_add_f32_e32 v78, v53, v78
	;; [unrolled: 3-line block ×6, first 2 shown]
	v_add_f32_e32 v68, v58, v67
	v_sub_f32_e32 v58, v58, v67
	v_sub_f32_e32 v67, v88, v115
	v_fma_f32 v73, v69, s14, -v72
	v_fmac_f32_e32 v72, 0x3f62ad3f, v69
	v_fma_f32 v77, v69, s13, -v76
	v_fmac_f32_e32 v76, 0x3f116cb1, v69
	;; [unrolled: 2-line block ×6, first 2 shown]
	v_mul_f32_e32 v70, 0xbf52af12, v67
	v_add_f32_e32 v73, v52, v73
	v_add_f32_e32 v72, v52, v72
	;; [unrolled: 1-line block ×12, first 2 shown]
	v_fma_f32 v71, v68, s13, -v70
	v_add_f32_e32 v69, v88, v115
	v_add_f32_e32 v71, v71, v73
	v_mul_f32_e32 v73, 0xbf52af12, v58
	v_fmac_f32_e32 v70, 0x3f116cb1, v68
	v_mov_b32_e32 v88, v73
	v_add_f32_e32 v70, v70, v72
	v_fma_f32 v72, v69, s13, -v73
	v_mul_f32_e32 v73, 0xbf6f5d39, v67
	v_add_f32_e32 v72, v72, v74
	v_fma_f32 v74, v68, s15, -v73
	v_fmac_f32_e32 v88, 0x3f116cb1, v69
	v_add_f32_e32 v74, v74, v77
	v_mul_f32_e32 v77, 0xbf6f5d39, v58
	v_fmac_f32_e32 v73, 0xbeb58ec6, v68
	v_add_f32_e32 v75, v88, v75
	v_mov_b32_e32 v88, v77
	v_add_f32_e32 v73, v73, v76
	v_fma_f32 v76, v69, s15, -v77
	v_mul_f32_e32 v77, 0xbe750f2a, v67
	v_add_f32_e32 v76, v76, v78
	v_fma_f32 v78, v68, s17, -v77
	v_fmac_f32_e32 v88, 0xbeb58ec6, v69
	v_add_f32_e32 v78, v78, v86
	v_mul_f32_e32 v86, 0xbe750f2a, v58
	v_add_f32_e32 v79, v88, v79
	v_mov_b32_e32 v88, v86
	v_fmac_f32_e32 v77, 0xbf788fa5, v68
	v_fmac_f32_e32 v88, 0xbf788fa5, v69
	v_add_f32_e32 v77, v77, v85
	v_fma_f32 v85, v69, s17, -v86
	v_mul_f32_e32 v86, 0x3f29c268, v67
	v_add_f32_e32 v88, v88, v89
	v_add_f32_e32 v85, v85, v87
	v_fma_f32 v87, v68, s16, -v86
	v_mul_f32_e32 v89, 0x3f29c268, v58
	v_add_f32_e32 v87, v87, v96
	v_mov_b32_e32 v96, v89
	v_fmac_f32_e32 v86, 0xbf3f9e67, v68
	v_fmac_f32_e32 v96, 0xbf3f9e67, v69
	v_add_f32_e32 v86, v86, v91
	v_fma_f32 v89, v69, s16, -v89
	v_mul_f32_e32 v91, 0x3f7e222b, v67
	v_add_f32_e32 v96, v96, v106
	v_add_f32_e32 v89, v89, v104
	v_fma_f32 v104, v68, s12, -v91
	v_mul_f32_e32 v106, 0x3f7e222b, v58
	v_add_f32_e32 v104, v104, v110
	v_mov_b32_e32 v110, v106
	v_fma_f32 v106, v69, s12, -v106
	v_mul_f32_e32 v58, 0x3eedf032, v58
	v_add_f32_e32 v106, v106, v112
	v_mov_b32_e32 v112, v58
	v_fma_f32 v58, v69, s14, -v58
	v_fmac_f32_e32 v91, 0x3df6dbef, v68
	v_mul_f32_e32 v67, 0x3eedf032, v67
	v_add_f32_e32 v53, v58, v53
	v_add_f32_e32 v58, v59, v66
	v_sub_f32_e32 v59, v59, v66
	v_sub_f32_e32 v66, v90, v113
	v_add_f32_e32 v91, v91, v108
	v_fma_f32 v108, v68, s14, -v67
	v_fmac_f32_e32 v67, 0x3f62ad3f, v68
	v_mul_f32_e32 v68, 0xbf7e222b, v66
	v_fmac_f32_e32 v110, 0x3df6dbef, v69
	v_fmac_f32_e32 v112, 0x3f62ad3f, v69
	v_fma_f32 v69, v58, s12, -v68
	v_add_f32_e32 v52, v67, v52
	v_add_f32_e32 v67, v90, v113
	;; [unrolled: 1-line block ×3, first 2 shown]
	v_mul_f32_e32 v71, 0xbf7e222b, v59
	v_fmac_f32_e32 v68, 0x3df6dbef, v58
	v_mov_b32_e32 v90, v71
	v_add_f32_e32 v68, v68, v70
	v_fma_f32 v70, v67, s12, -v71
	v_mul_f32_e32 v71, 0xbe750f2a, v66
	v_add_f32_e32 v70, v70, v72
	v_fma_f32 v72, v58, s17, -v71
	v_fmac_f32_e32 v90, 0x3df6dbef, v67
	v_add_f32_e32 v72, v72, v74
	v_mul_f32_e32 v74, 0xbe750f2a, v59
	v_fmac_f32_e32 v71, 0xbf788fa5, v58
	v_add_f32_e32 v75, v90, v75
	v_mov_b32_e32 v90, v74
	v_add_f32_e32 v71, v71, v73
	v_fma_f32 v73, v67, s17, -v74
	v_mul_f32_e32 v74, 0x3f6f5d39, v66
	v_add_f32_e32 v73, v73, v76
	v_fma_f32 v76, v58, s15, -v74
	v_fmac_f32_e32 v90, 0xbf788fa5, v67
	v_add_f32_e32 v76, v76, v78
	v_mul_f32_e32 v78, 0x3f6f5d39, v59
	v_fmac_f32_e32 v74, 0xbeb58ec6, v58
	v_add_f32_e32 v79, v90, v79
	v_mov_b32_e32 v90, v78
	v_add_f32_e32 v74, v74, v77
	v_fma_f32 v77, v67, s15, -v78
	v_mul_f32_e32 v78, 0x3eedf032, v66
	v_add_f32_e32 v77, v77, v85
	v_fma_f32 v85, v58, s14, -v78
	v_fmac_f32_e32 v90, 0xbeb58ec6, v67
	v_add_f32_e32 v85, v85, v87
	v_mul_f32_e32 v87, 0x3eedf032, v59
	v_add_f32_e32 v88, v90, v88
	v_mov_b32_e32 v90, v87
	v_fmac_f32_e32 v78, 0x3f62ad3f, v58
	v_fmac_f32_e32 v90, 0x3f62ad3f, v67
	v_add_f32_e32 v78, v78, v86
	v_fma_f32 v86, v67, s14, -v87
	v_mul_f32_e32 v87, 0xbf52af12, v66
	v_add_f32_e32 v90, v90, v96
	v_add_f32_e32 v86, v86, v89
	v_fma_f32 v89, v58, s13, -v87
	v_mul_f32_e32 v96, 0xbf52af12, v59
	v_fmac_f32_e32 v87, 0x3f116cb1, v58
	v_mul_f32_e32 v66, 0xbf29c268, v66
	v_mul_f32_e32 v59, 0xbf29c268, v59
	v_add_f32_e32 v89, v89, v104
	v_mov_b32_e32 v104, v96
	v_add_f32_e32 v87, v87, v91
	v_fma_f32 v91, v67, s13, -v96
	v_fma_f32 v96, v58, s16, -v66
	v_fmac_f32_e32 v66, 0xbf3f9e67, v58
	v_fma_f32 v58, v67, s16, -v59
	v_add_f32_e32 v53, v58, v53
	v_add_f32_e32 v58, v60, v65
	v_sub_f32_e32 v60, v60, v65
	v_sub_f32_e32 v65, v95, v111
	v_add_f32_e32 v91, v91, v106
	v_mov_b32_e32 v106, v59
	v_add_f32_e32 v52, v66, v52
	v_mul_f32_e32 v66, 0xbf6f5d39, v65
	v_fmac_f32_e32 v104, 0x3f116cb1, v67
	v_fmac_f32_e32 v106, 0xbf3f9e67, v67
	v_fma_f32 v67, v58, s15, -v66
	v_add_f32_e32 v59, v95, v111
	v_add_f32_e32 v67, v67, v69
	v_mul_f32_e32 v69, 0xbf6f5d39, v60
	v_fmac_f32_e32 v66, 0xbeb58ec6, v58
	v_mov_b32_e32 v95, v69
	v_add_f32_e32 v66, v66, v68
	v_fma_f32 v68, v59, s15, -v69
	v_mul_f32_e32 v69, 0x3f29c268, v65
	v_add_f32_e32 v68, v68, v70
	v_fma_f32 v70, v58, s16, -v69
	v_fmac_f32_e32 v95, 0xbeb58ec6, v59
	v_add_f32_e32 v70, v70, v72
	v_mul_f32_e32 v72, 0x3f29c268, v60
	v_fmac_f32_e32 v69, 0xbf3f9e67, v58
	v_add_f32_e32 v75, v95, v75
	v_mov_b32_e32 v95, v72
	v_add_f32_e32 v69, v69, v71
	v_fma_f32 v71, v59, s16, -v72
	v_mul_f32_e32 v72, 0x3eedf032, v65
	v_add_f32_e32 v71, v71, v73
	v_fma_f32 v73, v58, s14, -v72
	v_fmac_f32_e32 v95, 0xbf3f9e67, v59
	v_add_f32_e32 v73, v73, v76
	v_mul_f32_e32 v76, 0x3eedf032, v60
	v_fmac_f32_e32 v72, 0x3f62ad3f, v58
	v_add_f32_e32 v79, v95, v79
	;; [unrolled: 11-line block ×3, first 2 shown]
	v_mov_b32_e32 v95, v85
	v_add_f32_e32 v76, v76, v78
	v_fma_f32 v78, v59, s12, -v85
	v_mul_f32_e32 v85, 0x3e750f2a, v65
	v_add_f32_e32 v78, v78, v86
	v_fma_f32 v86, v58, s17, -v85
	v_fmac_f32_e32 v95, 0x3df6dbef, v59
	v_add_f32_e32 v86, v86, v89
	v_mul_f32_e32 v89, 0x3e750f2a, v60
	v_fmac_f32_e32 v85, 0xbf788fa5, v58
	v_mul_f32_e32 v65, 0x3f52af12, v65
	v_mul_f32_e32 v60, 0x3f52af12, v60
	v_add_f32_e32 v90, v95, v90
	v_mov_b32_e32 v95, v89
	v_add_f32_e32 v85, v85, v87
	v_fma_f32 v87, v59, s17, -v89
	v_fma_f32 v89, v58, s13, -v65
	v_fmac_f32_e32 v65, 0x3f116cb1, v58
	v_fma_f32 v58, v59, s13, -v60
	v_add_f32_e32 v87, v87, v91
	v_mov_b32_e32 v91, v60
	v_add_f32_e32 v53, v58, v53
	v_add_f32_e32 v58, v61, v64
	v_sub_f32_e32 v60, v61, v64
	v_sub_f32_e32 v61, v103, v109
	v_mul_f32_e32 v64, 0xbf29c268, v61
	v_add_f32_e32 v108, v108, v116
	v_add_f32_e32 v52, v65, v52
	v_fma_f32 v65, v58, s16, -v64
	v_add_f32_e32 v96, v96, v108
	v_fmac_f32_e32 v95, 0xbf788fa5, v59
	v_fmac_f32_e32 v91, 0x3f116cb1, v59
	v_add_f32_e32 v59, v103, v109
	v_add_f32_e32 v65, v65, v67
	v_mul_f32_e32 v67, 0xbf29c268, v60
	v_fmac_f32_e32 v64, 0xbf3f9e67, v58
	v_add_f32_e32 v89, v89, v96
	v_mov_b32_e32 v96, v67
	v_add_f32_e32 v64, v64, v66
	v_fma_f32 v66, v59, s16, -v67
	v_mul_f32_e32 v67, 0x3f7e222b, v61
	v_add_f32_e32 v66, v66, v68
	v_fma_f32 v68, v58, s12, -v67
	v_fmac_f32_e32 v96, 0xbf3f9e67, v59
	v_add_f32_e32 v68, v68, v70
	v_mul_f32_e32 v70, 0x3f7e222b, v60
	v_fmac_f32_e32 v67, 0x3df6dbef, v58
	v_add_f32_e32 v75, v96, v75
	v_mov_b32_e32 v96, v70
	v_add_f32_e32 v67, v67, v69
	v_fma_f32 v69, v59, s12, -v70
	v_mul_f32_e32 v70, 0xbf52af12, v61
	v_add_f32_e32 v69, v69, v71
	v_fma_f32 v71, v58, s13, -v70
	v_add_f32_e32 v73, v71, v73
	v_mul_f32_e32 v71, 0xbf52af12, v60
	v_fmac_f32_e32 v70, 0x3f116cb1, v58
	v_add_f32_e32 v72, v70, v72
	v_fma_f32 v70, v59, s13, -v71
	v_fmac_f32_e32 v96, 0x3df6dbef, v59
	v_add_f32_e32 v74, v70, v74
	v_mul_f32_e32 v70, 0x3e750f2a, v61
	v_add_f32_e32 v79, v96, v79
	v_mov_b32_e32 v96, v71
	v_fma_f32 v71, v58, s17, -v70
	v_add_f32_e32 v77, v71, v77
	v_mul_f32_e32 v71, 0x3e750f2a, v60
	v_fmac_f32_e32 v70, 0xbf788fa5, v58
	v_add_f32_e32 v76, v70, v76
	v_fma_f32 v70, v59, s17, -v71
	v_fmac_f32_e32 v96, 0x3f116cb1, v59
	v_add_f32_e32 v78, v70, v78
	v_mul_f32_e32 v70, 0x3eedf032, v61
	v_add_f32_e32 v88, v96, v88
	v_mov_b32_e32 v96, v71
	v_fma_f32 v71, v58, s14, -v70
	v_add_f32_e32 v110, v110, v114
	v_fmac_f32_e32 v96, 0xbf788fa5, v59
	v_add_f32_e32 v86, v71, v86
	v_mul_f32_e32 v71, 0x3eedf032, v60
	v_fmac_f32_e32 v70, 0x3f62ad3f, v58
	v_add_f32_e32 v112, v112, v117
	v_add_f32_e32 v104, v104, v110
	;; [unrolled: 1-line block ×3, first 2 shown]
	v_mov_b32_e32 v96, v71
	v_add_f32_e32 v85, v70, v85
	v_fma_f32 v70, v59, s14, -v71
	v_mul_f32_e32 v61, 0xbf6f5d39, v61
	v_add_f32_e32 v106, v106, v112
	v_add_f32_e32 v95, v95, v104
	v_fmac_f32_e32 v96, 0x3f62ad3f, v59
	v_add_f32_e32 v87, v70, v87
	v_fma_f32 v70, v58, s15, -v61
	v_mul_f32_e32 v60, 0xbf6f5d39, v60
	v_fmac_f32_e32 v61, 0xbeb58ec6, v58
	v_add_f32_e32 v91, v91, v106
	v_add_f32_e32 v95, v96, v95
	;; [unrolled: 1-line block ×3, first 2 shown]
	v_fma_f32 v52, v59, s15, -v60
	v_add_f32_e32 v106, v105, v107
	v_sub_f32_e32 v105, v105, v107
	v_add_f32_e32 v89, v70, v89
	v_mov_b32_e32 v70, v60
	v_add_f32_e32 v103, v52, v53
	v_add_f32_e32 v104, v62, v63
	v_sub_f32_e32 v108, v62, v63
	v_mul_f32_e32 v52, 0xbe750f2a, v105
	v_mul_f32_e32 v62, 0x3eedf032, v105
	v_fmac_f32_e32 v70, 0xbeb58ec6, v59
	v_fma_f32 v53, v104, s17, -v52
	v_fmac_f32_e32 v52, 0xbf788fa5, v104
	v_fma_f32 v60, v104, s14, -v62
	v_mul_f32_e32 v63, 0x3eedf032, v108
	v_fmac_f32_e32 v62, 0x3f62ad3f, v104
	v_add_f32_e32 v91, v70, v91
	v_add_f32_e32 v58, v53, v65
	v_mul_f32_e32 v53, 0xbe750f2a, v108
	v_add_f32_e32 v52, v52, v64
	v_add_f32_e32 v70, v62, v67
	v_fma_f32 v62, v106, s14, -v63
	v_mul_f32_e32 v64, 0xbf29c268, v105
	v_mov_b32_e32 v59, v53
	v_fma_f32 v53, v106, s17, -v53
	v_add_f32_e32 v71, v62, v69
	v_fma_f32 v62, v104, s16, -v64
	v_mul_f32_e32 v65, 0xbf29c268, v108
	v_fmac_f32_e32 v64, 0xbf3f9e67, v104
	v_add_f32_e32 v53, v53, v66
	v_add_f32_e32 v60, v60, v68
	v_mov_b32_e32 v61, v63
	v_add_f32_e32 v68, v64, v72
	v_fma_f32 v64, v106, s16, -v65
	v_mul_f32_e32 v66, 0x3f52af12, v105
	v_fmac_f32_e32 v61, 0x3f62ad3f, v106
	v_add_f32_e32 v69, v64, v74
	v_fma_f32 v64, v104, s13, -v66
	v_mul_f32_e32 v67, 0x3f52af12, v108
	v_fmac_f32_e32 v66, 0x3f116cb1, v104
	v_fmac_f32_e32 v59, 0xbf788fa5, v106
	v_add_f32_e32 v61, v61, v79
	v_mov_b32_e32 v63, v65
	v_add_f32_e32 v74, v66, v76
	v_fma_f32 v66, v106, s13, -v67
	v_mul_f32_e32 v72, 0xbf6f5d39, v105
	v_mul_f32_e32 v79, 0x3f7e222b, v108
	v_add_f32_e32 v59, v59, v75
	v_add_f32_e32 v62, v62, v73
	v_fmac_f32_e32 v63, 0xbf3f9e67, v106
	v_add_f32_e32 v64, v64, v77
	v_add_f32_e32 v75, v66, v78
	v_fma_f32 v66, v104, s15, -v72
	v_mul_f32_e32 v73, 0xbf6f5d39, v108
	v_fmac_f32_e32 v72, 0xbeb58ec6, v104
	v_mul_f32_e32 v78, 0x3f7e222b, v105
	v_mov_b32_e32 v77, v79
	v_add_f32_e32 v63, v63, v88
	v_mov_b32_e32 v65, v67
	v_mov_b32_e32 v67, v73
	v_add_f32_e32 v72, v72, v85
	v_fma_f32 v76, v104, s12, -v78
	v_fmac_f32_e32 v77, 0x3df6dbef, v106
	v_fmac_f32_e32 v78, 0x3df6dbef, v104
	v_fma_f32 v79, v106, s12, -v79
	v_add_u32_e32 v85, 0x400, v97
	v_fmac_f32_e32 v65, 0x3f116cb1, v106
	v_fmac_f32_e32 v67, 0xbeb58ec6, v106
	v_fma_f32 v73, v106, s15, -v73
	v_add_f32_e32 v76, v76, v89
	v_add_f32_e32 v77, v77, v91
	;; [unrolled: 1-line block ×4, first 2 shown]
	ds_write_b64 v97, v[56:57]
	ds_write_b64 v97, v[58:59] offset:952
	ds_write2_b64 v85, v[60:61], v[62:63] offset0:110 offset1:229
	v_add_u32_e32 v85, 0x1400, v97
	v_add_f32_e32 v65, v65, v90
	v_add_f32_e32 v66, v66, v86
	;; [unrolled: 1-line block ×4, first 2 shown]
	v_add_u32_e32 v86, 0xc00, v97
	ds_write2_b64 v85, v[76:77], v[78:79] offset0:74 offset1:193
	v_add_u32_e32 v85, 0x1c00, v97
	v_add_u32_e32 v87, 0x2400, v97
	ds_write2_b64 v86, v[64:65], v[66:67] offset0:92 offset1:211
	ds_write2_b64 v85, v[72:73], v[74:75] offset0:56 offset1:175
	;; [unrolled: 1-line block ×3, first 2 shown]
	ds_write_b64 v97, v[52:53] offset:11424
	s_waitcnt lgkmcnt(0)
	s_barrier
	s_and_saveexec_b64 s[12:13], s[0:1]
	s_cbranch_execz .LBB0_13
; %bb.12:
	v_mov_b32_e32 v87, s9
	v_add_co_u32_e32 v91, vcc, s8, v97
	v_addc_co_u32_e32 v103, vcc, 0, v87, vcc
	v_add_co_u32_e32 v87, vcc, 0x3058, v91
	v_addc_co_u32_e32 v88, vcc, 0, v103, vcc
	;; [unrolled: 2-line block ×3, first 2 shown]
	global_load_dwordx2 v[95:96], v[89:90], off offset:88
	global_load_dwordx2 v[123:124], v[87:88], off offset:728
	;; [unrolled: 1-line block ×5, first 2 shown]
	s_movk_i32 s14, 0x4000
	v_add_co_u32_e32 v89, vcc, s14, v91
	v_addc_co_u32_e32 v90, vcc, 0, v103, vcc
	global_load_dwordx2 v[131:132], v[89:90], off offset:360
	global_load_dwordx2 v[133:134], v[89:90], off offset:1088
	;; [unrolled: 1-line block ×6, first 2 shown]
	s_movk_i32 s14, 0x5000
	global_load_dwordx2 v[143:144], v[89:90], off offset:4000
	v_add_co_u32_e32 v87, vcc, s14, v91
	v_addc_co_u32_e32 v88, vcc, 0, v103, vcc
	global_load_dwordx2 v[145:146], v[87:88], off offset:632
	global_load_dwordx2 v[147:148], v[87:88], off offset:1360
	;; [unrolled: 1-line block ×3, first 2 shown]
	ds_read_b64 v[89:90], v97
	global_load_dwordx2 v[151:152], v[87:88], off offset:2816
	global_load_dwordx2 v[153:154], v[87:88], off offset:3544
	s_waitcnt vmcnt(16) lgkmcnt(0)
	v_mul_f32_e32 v87, v90, v96
	v_mul_f32_e32 v88, v89, v96
	v_fma_f32 v87, v89, v95, -v87
	v_fmac_f32_e32 v88, v90, v95
	ds_write_b64 v97, v[87:88]
	ds_read2_b64 v[87:90], v97 offset0:91 offset1:182
	ds_read2_b64 v[103:106], v84 offset0:17 offset1:108
	;; [unrolled: 1-line block ×6, first 2 shown]
	s_waitcnt vmcnt(15) lgkmcnt(5)
	v_mul_f32_e32 v95, v88, v124
	v_mul_f32_e32 v96, v87, v124
	s_waitcnt vmcnt(14)
	v_mul_f32_e32 v155, v90, v126
	v_mul_f32_e32 v124, v89, v126
	s_waitcnt vmcnt(13) lgkmcnt(4)
	v_mul_f32_e32 v156, v104, v128
	v_mul_f32_e32 v91, v103, v128
	s_waitcnt vmcnt(12)
	v_mul_f32_e32 v157, v106, v130
	v_mul_f32_e32 v126, v105, v130
	s_waitcnt vmcnt(9) lgkmcnt(3)
	v_mul_f32_e32 v158, v108, v136
	v_mul_f32_e32 v128, v107, v136
	v_mul_f32_e32 v159, v110, v132
	v_mul_f32_e32 v130, v109, v132
	s_waitcnt lgkmcnt(2)
	v_mul_f32_e32 v160, v112, v134
	v_mul_f32_e32 v132, v111, v134
	s_waitcnt vmcnt(8)
	v_mul_f32_e32 v161, v114, v138
	v_mul_f32_e32 v134, v113, v138
	v_fma_f32 v95, v87, v123, -v95
	v_fmac_f32_e32 v96, v88, v123
	v_fma_f32 v123, v89, v125, -v155
	v_fmac_f32_e32 v124, v90, v125
	;; [unrolled: 2-line block ×8, first 2 shown]
	ds_write2_b64 v97, v[95:96], v[123:124] offset0:91 offset1:182
	ds_write2_b64 v84, v[90:91], v[125:126] offset0:17 offset1:108
	;; [unrolled: 1-line block ×4, first 2 shown]
	ds_read2_b64 v[86:89], v81 offset0:159 offset1:250
	s_waitcnt vmcnt(7) lgkmcnt(6)
	v_mul_f32_e32 v138, v116, v140
	v_mul_f32_e32 v136, v115, v140
	s_waitcnt vmcnt(6)
	v_mul_f32_e32 v140, v118, v142
	v_mul_f32_e32 v84, v117, v142
	v_fma_f32 v135, v115, v139, -v138
	v_fmac_f32_e32 v136, v116, v139
	v_fma_f32 v83, v117, v141, -v140
	v_fmac_f32_e32 v84, v118, v141
	ds_write2_b64 v82, v[135:136], v[83:84] offset0:51 offset1:142
	s_waitcnt vmcnt(5) lgkmcnt(6)
	v_mul_f32_e32 v82, v120, v144
	v_mul_f32_e32 v83, v119, v144
	s_waitcnt vmcnt(4)
	v_mul_f32_e32 v84, v122, v146
	v_mul_f32_e32 v91, v121, v146
	v_fma_f32 v82, v119, v143, -v82
	v_fmac_f32_e32 v83, v120, v143
	v_fma_f32 v90, v121, v145, -v84
	v_fmac_f32_e32 v91, v122, v145
	ds_write2_b64 v85, v[82:83], v[90:91] offset0:105 offset1:196
	s_waitcnt vmcnt(3) lgkmcnt(2)
	v_mul_f32_e32 v82, v87, v148
	v_fma_f32 v90, v86, v147, -v82
	ds_read2_b64 v[82:85], v80 offset0:85 offset1:176
	v_mul_f32_e32 v91, v86, v148
	v_fmac_f32_e32 v91, v87, v147
	s_waitcnt vmcnt(2)
	v_mul_f32_e32 v86, v89, v150
	v_mul_f32_e32 v87, v88, v150
	v_fma_f32 v86, v88, v149, -v86
	v_fmac_f32_e32 v87, v89, v149
	ds_write2_b64 v81, v[90:91], v[86:87] offset0:159 offset1:250
	s_waitcnt vmcnt(1) lgkmcnt(1)
	v_mul_f32_e32 v81, v83, v152
	v_fma_f32 v81, v82, v151, -v81
	v_mul_f32_e32 v82, v82, v152
	v_fmac_f32_e32 v82, v83, v151
	s_waitcnt vmcnt(0)
	v_mul_f32_e32 v83, v85, v154
	v_fma_f32 v83, v84, v153, -v83
	v_mul_f32_e32 v84, v84, v154
	v_fmac_f32_e32 v84, v85, v153
	ds_write2_b64 v80, v[81:82], v[83:84] offset0:85 offset1:176
.LBB0_13:
	s_or_b64 exec, exec, s[12:13]
	s_waitcnt lgkmcnt(0)
	s_barrier
	s_and_saveexec_b64 s[12:13], s[0:1]
	s_cbranch_execz .LBB0_15
; %bb.14:
	v_add_u32_e32 v0, 0x400, v97
	ds_read2_b64 v[60:63], v0 offset0:54 offset1:145
	v_add_u32_e32 v0, 0x800, v97
	ds_read2_b64 v[64:67], v0 offset0:108 offset1:199
	;; [unrolled: 2-line block ×6, first 2 shown]
	v_add_u32_e32 v0, 0x2400, v97
	ds_read2_b64 v[56:59], v97 offset1:91
	ds_read2_b64 v[0:3], v0 offset0:122 offset1:213
	ds_read_b64 v[93:94], v97 offset:11648
.LBB0_15:
	s_or_b64 exec, exec, s[12:13]
	s_waitcnt lgkmcnt(0)
	v_sub_f32_e32 v110, v59, v94
	v_add_f32_e32 v103, v93, v58
	v_add_f32_e32 v112, v94, v59
	s_mov_b32 s14, 0x3dbcf732
	v_mul_f32_e32 v124, 0xbf7ee86f, v110
	v_sub_f32_e32 v114, v61, v3
	v_mul_f32_e32 v127, 0x3dbcf732, v112
	v_fma_f32 v80, v103, s14, -v124
	s_mov_b32 s18, 0xbf7ba420
	v_add_f32_e32 v105, v2, v60
	v_add_f32_e32 v116, v3, v61
	v_mul_f32_e32 v132, 0xbe3c28d5, v114
	v_sub_f32_e32 v104, v58, v93
	v_add_f32_e32 v80, v56, v80
	v_mov_b32_e32 v81, v127
	v_mul_f32_e32 v135, 0xbf7ba420, v116
	v_fma_f32 v107, v105, s18, -v132
	v_fmac_f32_e32 v81, 0xbf7ee86f, v104
	s_mov_b32 s15, 0xbe8c1d8e
	v_mul_f32_e32 v130, 0xbf763a35, v110
	v_sub_f32_e32 v106, v60, v2
	v_add_f32_e32 v80, v107, v80
	v_mov_b32_e32 v107, v135
	v_add_f32_e32 v81, v57, v81
	v_mul_f32_e32 v133, 0xbe8c1d8e, v112
	v_fma_f32 v82, v103, s15, -v130
	s_mov_b32 s17, 0xbf59a7d5
	v_fmac_f32_e32 v107, 0xbe3c28d5, v106
	v_mul_f32_e32 v137, 0x3f06c442, v114
	v_add_f32_e32 v82, v56, v82
	v_mov_b32_e32 v83, v133
	v_add_f32_e32 v81, v107, v81
	v_mul_f32_e32 v141, 0xbf59a7d5, v116
	v_fma_f32 v107, v105, s17, -v137
	v_fmac_f32_e32 v83, 0xbf763a35, v104
	s_mov_b32 s16, 0xbf1a4643
	v_mul_f32_e32 v136, 0xbf4c4adb, v110
	v_add_f32_e32 v82, v107, v82
	v_mov_b32_e32 v107, v141
	v_add_f32_e32 v83, v57, v83
	v_mul_f32_e32 v139, 0xbf1a4643, v112
	v_fma_f32 v84, v103, s16, -v136
	v_fmac_f32_e32 v107, 0x3f06c442, v106
	v_mul_f32_e32 v144, 0x3f763a35, v114
	v_add_f32_e32 v84, v56, v84
	v_mov_b32_e32 v85, v139
	v_add_f32_e32 v83, v107, v83
	v_mul_f32_e32 v147, 0xbe8c1d8e, v116
	v_fma_f32 v107, v105, s15, -v144
	v_fmac_f32_e32 v85, 0xbf4c4adb, v104
	v_add_f32_e32 v84, v107, v84
	v_mov_b32_e32 v107, v147
	v_add_f32_e32 v85, v57, v85
	v_mul_f32_e32 v86, 0xbf06c442, v110
	v_fmac_f32_e32 v107, 0x3f763a35, v106
	v_mov_b32_e32 v87, v86
	v_add_f32_e32 v85, v107, v85
	v_mul_f32_e32 v107, 0x3f65296c, v114
	v_fmac_f32_e32 v87, 0xbf59a7d5, v103
	v_mov_b32_e32 v108, v107
	v_add_f32_e32 v87, v56, v87
	v_mul_f32_e32 v88, 0xbf59a7d5, v112
	v_fma_f32 v86, v103, s17, -v86
	s_mov_b32 s19, 0x3ee437d1
	v_fmac_f32_e32 v108, 0x3ee437d1, v105
	v_mov_b32_e32 v89, v88
	v_add_f32_e32 v86, v56, v86
	v_fmac_f32_e32 v88, 0xbf06c442, v104
	v_mul_f32_e32 v90, 0xbe3c28d5, v110
	v_add_f32_e32 v87, v108, v87
	v_mul_f32_e32 v108, 0x3ee437d1, v116
	v_fma_f32 v107, v105, s19, -v107
	v_add_f32_e32 v88, v57, v88
	v_mov_b32_e32 v91, v90
	v_mov_b32_e32 v109, v108
	v_add_f32_e32 v86, v107, v86
	v_fmac_f32_e32 v108, 0x3f65296c, v106
	v_mul_f32_e32 v107, 0x3eb8f4ab, v114
	v_fmac_f32_e32 v91, 0xbf7ba420, v103
	v_add_f32_e32 v88, v108, v88
	v_mov_b32_e32 v108, v107
	v_fmac_f32_e32 v89, 0x3f06c442, v104
	v_add_f32_e32 v91, v56, v91
	v_mul_f32_e32 v95, 0xbf7ba420, v112
	v_fmac_f32_e32 v108, 0x3f6eb680, v105
	v_add_f32_e32 v89, v57, v89
	v_mov_b32_e32 v96, v95
	v_fma_f32 v90, v103, s18, -v90
	v_fmac_f32_e32 v109, 0xbf65296c, v106
	s_mov_b32 s20, 0x3f6eb680
	v_add_f32_e32 v91, v108, v91
	v_mul_f32_e32 v108, 0x3f6eb680, v116
	v_fmac_f32_e32 v96, 0x3e3c28d5, v104
	v_add_f32_e32 v90, v56, v90
	v_add_f32_e32 v89, v109, v89
	v_mov_b32_e32 v109, v108
	v_fma_f32 v107, v105, s20, -v107
	v_sub_f32_e32 v118, v63, v1
	v_add_f32_e32 v96, v57, v96
	v_fmac_f32_e32 v95, 0xbe3c28d5, v104
	v_fmac_f32_e32 v109, 0xbeb8f4ab, v106
	v_add_f32_e32 v90, v107, v90
	v_add_f32_e32 v107, v0, v62
	;; [unrolled: 1-line block ×3, first 2 shown]
	v_mul_f32_e32 v140, 0x3f763a35, v118
	v_add_f32_e32 v95, v57, v95
	v_add_f32_e32 v96, v109, v96
	v_fmac_f32_e32 v108, 0x3eb8f4ab, v106
	v_mul_f32_e32 v143, 0xbe8c1d8e, v120
	v_fma_f32 v109, v107, s15, -v140
	v_add_f32_e32 v95, v108, v95
	v_sub_f32_e32 v108, v62, v0
	v_add_f32_e32 v80, v109, v80
	v_mov_b32_e32 v109, v143
	v_fmac_f32_e32 v109, 0x3f763a35, v108
	s_mov_b32 s21, 0x3f3d2fb0
	v_mul_f32_e32 v146, 0x3f2c7751, v118
	v_add_f32_e32 v81, v109, v81
	v_mul_f32_e32 v150, 0x3f3d2fb0, v120
	v_fma_f32 v109, v107, s21, -v146
	v_add_f32_e32 v82, v109, v82
	v_mov_b32_e32 v109, v150
	v_fmac_f32_e32 v109, 0x3f2c7751, v108
	v_mul_f32_e32 v152, 0xbeb8f4ab, v118
	v_add_f32_e32 v83, v109, v83
	v_mul_f32_e32 v155, 0x3f6eb680, v120
	v_fma_f32 v109, v107, s20, -v152
	v_add_f32_e32 v84, v109, v84
	v_mov_b32_e32 v109, v155
	v_fmac_f32_e32 v109, 0xbeb8f4ab, v108
	v_add_f32_e32 v85, v109, v85
	v_mul_f32_e32 v109, 0xbf7ee86f, v118
	v_mov_b32_e32 v111, v109
	v_fmac_f32_e32 v111, 0x3dbcf732, v107
	v_add_f32_e32 v87, v111, v87
	v_mul_f32_e32 v111, 0x3dbcf732, v120
	v_fma_f32 v109, v107, s14, -v109
	v_mov_b32_e32 v113, v111
	v_add_f32_e32 v86, v109, v86
	v_fmac_f32_e32 v111, 0xbf7ee86f, v108
	v_mul_f32_e32 v109, 0xbf06c442, v118
	v_add_f32_e32 v88, v111, v88
	v_mov_b32_e32 v111, v109
	v_fmac_f32_e32 v111, 0xbf59a7d5, v107
	v_fmac_f32_e32 v113, 0x3f7ee86f, v108
	v_add_f32_e32 v91, v111, v91
	v_mul_f32_e32 v111, 0xbf59a7d5, v120
	v_add_f32_e32 v89, v113, v89
	v_mov_b32_e32 v113, v111
	v_fma_f32 v109, v107, s17, -v109
	v_sub_f32_e32 v122, v65, v55
	v_fmac_f32_e32 v113, 0x3f06c442, v108
	v_add_f32_e32 v90, v109, v90
	v_add_f32_e32 v109, v54, v64
	v_add_f32_e32 v125, v55, v65
	v_mul_f32_e32 v148, 0x3eb8f4ab, v122
	v_add_f32_e32 v96, v113, v96
	v_fmac_f32_e32 v111, 0xbf06c442, v108
	v_mul_f32_e32 v151, 0x3f6eb680, v125
	v_fma_f32 v113, v109, s20, -v148
	v_add_f32_e32 v95, v111, v95
	v_sub_f32_e32 v111, v64, v54
	v_add_f32_e32 v80, v113, v80
	v_mov_b32_e32 v113, v151
	v_fmac_f32_e32 v113, 0x3eb8f4ab, v111
	v_mul_f32_e32 v154, 0xbf65296c, v122
	v_add_f32_e32 v81, v113, v81
	v_mul_f32_e32 v157, 0x3ee437d1, v125
	v_fma_f32 v113, v109, s19, -v154
	v_add_f32_e32 v82, v113, v82
	v_mov_b32_e32 v113, v157
	v_fmac_f32_e32 v113, 0xbf65296c, v111
	v_mul_f32_e32 v159, 0xbf06c442, v122
	v_add_f32_e32 v83, v113, v83
	v_mul_f32_e32 v161, 0xbf59a7d5, v125
	v_fma_f32 v113, v109, s17, -v159
	v_add_f32_e32 v84, v113, v84
	v_mov_b32_e32 v113, v161
	v_fmac_f32_e32 v113, 0xbf06c442, v111
	v_add_f32_e32 v85, v113, v85
	v_mul_f32_e32 v113, 0x3f4c4adb, v122
	v_mov_b32_e32 v115, v113
	v_fmac_f32_e32 v115, 0xbf1a4643, v109
	v_add_f32_e32 v87, v115, v87
	v_mul_f32_e32 v115, 0xbf1a4643, v125
	v_fma_f32 v113, v109, s16, -v113
	v_mov_b32_e32 v117, v115
	v_add_f32_e32 v86, v113, v86
	v_fmac_f32_e32 v115, 0x3f4c4adb, v111
	v_mul_f32_e32 v113, 0x3f2c7751, v122
	v_add_f32_e32 v88, v115, v88
	v_mov_b32_e32 v115, v113
	v_fmac_f32_e32 v115, 0x3f3d2fb0, v109
	v_fmac_f32_e32 v117, 0xbf4c4adb, v111
	v_add_f32_e32 v91, v115, v91
	v_mul_f32_e32 v115, 0x3f3d2fb0, v125
	v_add_f32_e32 v89, v117, v89
	v_mov_b32_e32 v117, v115
	v_fma_f32 v113, v109, s21, -v113
	v_sub_f32_e32 v128, v67, v53
	v_fmac_f32_e32 v117, 0xbf2c7751, v111
	v_add_f32_e32 v90, v113, v90
	v_add_f32_e32 v113, v52, v66
	v_add_f32_e32 v131, v53, v67
	v_mul_f32_e32 v156, 0xbf65296c, v128
	v_add_f32_e32 v96, v117, v96
	v_fmac_f32_e32 v115, 0x3f2c7751, v111
	v_mul_f32_e32 v158, 0x3ee437d1, v131
	v_fma_f32 v117, v113, s19, -v156
	v_add_f32_e32 v95, v115, v95
	v_sub_f32_e32 v115, v66, v52
	v_add_f32_e32 v80, v117, v80
	v_mov_b32_e32 v117, v158
	v_fmac_f32_e32 v117, 0xbf65296c, v115
	;; [unrolled: 49-line block ×4, first 2 shown]
	v_mul_f32_e32 v172, 0xbeb8f4ab, v142
	v_add_f32_e32 v81, v126, v81
	v_mul_f32_e32 v175, 0x3f6eb680, v145
	v_fma_f32 v126, v121, s20, -v172
	v_add_f32_e32 v181, v126, v82
	v_mov_b32_e32 v82, v175
	v_fmac_f32_e32 v82, 0xbeb8f4ab, v123
	v_mul_f32_e32 v177, 0xbe3c28d5, v142
	v_add_f32_e32 v182, v82, v83
	v_mul_f32_e32 v179, 0xbf7ba420, v145
	v_fma_f32 v82, v121, s18, -v177
	v_add_f32_e32 v84, v82, v84
	v_mov_b32_e32 v82, v179
	v_fmac_f32_e32 v82, 0xbe3c28d5, v123
	v_add_f32_e32 v85, v82, v85
	v_mul_f32_e32 v82, 0x3f2c7751, v142
	v_mov_b32_e32 v83, v82
	v_fmac_f32_e32 v83, 0x3f3d2fb0, v121
	v_add_f32_e32 v183, v83, v87
	v_mul_f32_e32 v83, 0x3f3d2fb0, v145
	v_fma_f32 v82, v121, s21, -v82
	v_mov_b32_e32 v87, v83
	v_add_f32_e32 v184, v82, v86
	v_fmac_f32_e32 v83, 0x3f2c7751, v123
	v_mul_f32_e32 v82, 0xbf763a35, v142
	v_sub_f32_e32 v149, v73, v75
	v_add_f32_e32 v88, v83, v88
	v_mov_b32_e32 v83, v82
	v_fma_f32 v82, v121, s15, -v82
	v_add_f32_e32 v126, v74, v72
	v_add_f32_e32 v153, v75, v73
	v_mul_f32_e32 v174, 0x3f2c7751, v149
	v_fmac_f32_e32 v83, 0xbe8c1d8e, v121
	v_add_f32_e32 v90, v82, v90
	v_mul_f32_e32 v176, 0x3f3d2fb0, v153
	v_fma_f32 v82, v126, s21, -v174
	v_add_f32_e32 v91, v83, v91
	v_mul_f32_e32 v83, 0xbe8c1d8e, v145
	v_sub_f32_e32 v129, v72, v74
	v_add_f32_e32 v82, v82, v80
	v_mov_b32_e32 v80, v176
	v_mov_b32_e32 v86, v83
	v_fmac_f32_e32 v83, 0xbf763a35, v123
	v_fmac_f32_e32 v80, 0x3f2c7751, v129
	v_mul_f32_e32 v178, 0xbf4c4adb, v149
	v_mul_f32_e32 v180, 0xbf1a4643, v153
	v_add_f32_e32 v186, v83, v95
	v_add_f32_e32 v83, v80, v81
	v_fma_f32 v80, v126, s16, -v178
	v_mov_b32_e32 v81, v180
	v_fmac_f32_e32 v86, 0x3f763a35, v123
	v_add_f32_e32 v80, v80, v181
	v_fmac_f32_e32 v81, 0xbf4c4adb, v129
	v_mul_f32_e32 v181, 0x3f65296c, v149
	v_add_f32_e32 v185, v86, v96
	v_add_f32_e32 v81, v81, v182
	v_mul_f32_e32 v182, 0x3ee437d1, v153
	v_fma_f32 v86, v126, s19, -v181
	v_add_f32_e32 v86, v86, v84
	v_mov_b32_e32 v84, v182
	v_fmac_f32_e32 v87, 0xbf2c7751, v123
	v_fmac_f32_e32 v84, 0x3f65296c, v129
	v_add_f32_e32 v89, v87, v89
	v_add_f32_e32 v87, v84, v85
	v_mul_f32_e32 v84, 0xbf763a35, v149
	v_mov_b32_e32 v85, v84
	v_fmac_f32_e32 v85, 0xbe8c1d8e, v126
	v_add_f32_e32 v95, v85, v183
	v_mul_f32_e32 v85, 0xbe8c1d8e, v153
	v_mov_b32_e32 v96, v85
	v_fmac_f32_e32 v85, 0xbf763a35, v129
	v_mul_f32_e32 v183, 0x3f7ee86f, v149
	v_add_f32_e32 v85, v85, v88
	v_mov_b32_e32 v88, v183
	v_fmac_f32_e32 v88, 0x3dbcf732, v126
	v_fmac_f32_e32 v96, 0x3f763a35, v129
	v_add_f32_e32 v88, v88, v91
	v_mul_f32_e32 v91, 0x3dbcf732, v153
	v_add_f32_e32 v96, v96, v89
	v_mov_b32_e32 v89, v91
	v_fma_f32 v84, v126, s15, -v84
	v_fmac_f32_e32 v89, 0xbf7ee86f, v129
	v_fma_f32 v183, v126, s14, -v183
	v_fmac_f32_e32 v91, 0x3f7ee86f, v129
	v_add_f32_e32 v84, v84, v184
	v_add_f32_e32 v89, v89, v185
	;; [unrolled: 1-line block ×4, first 2 shown]
	s_barrier
	s_and_saveexec_b64 s[12:13], s[0:1]
	s_cbranch_execz .LBB0_17
; %bb.16:
	v_mul_f32_e32 v188, 0xbf4c4adb, v104
	v_mul_f32_e32 v194, 0x3f763a35, v106
	v_sub_f32_e32 v139, v139, v188
	v_mul_f32_e32 v200, 0xbeb8f4ab, v108
	v_add_f32_e32 v139, v57, v139
	v_sub_f32_e32 v147, v147, v194
	v_mul_f32_e32 v206, 0xbf06c442, v111
	v_add_f32_e32 v139, v147, v139
	;; [unrolled: 3-line block ×5, first 2 shown]
	v_sub_f32_e32 v147, v173, v218
	v_mul_f32_e32 v187, 0xbf1a4643, v103
	v_mul_f32_e32 v230, 0x3f65296c, v129
	v_add_f32_e32 v139, v147, v139
	v_sub_f32_e32 v147, v179, v224
	v_mul_f32_e32 v193, 0xbe8c1d8e, v105
	v_add_f32_e32 v139, v147, v139
	v_sub_f32_e32 v147, v182, v230
	v_add_f32_e32 v136, v187, v136
	v_mul_f32_e32 v199, 0x3f6eb680, v107
	v_add_f32_e32 v182, v147, v139
	v_add_f32_e32 v136, v56, v136
	;; [unrolled: 1-line block ×3, first 2 shown]
	v_mul_f32_e32 v205, 0xbf59a7d5, v109
	v_add_f32_e32 v136, v139, v136
	v_add_f32_e32 v139, v199, v152
	v_mul_f32_e32 v211, 0x3dbcf732, v113
	v_add_f32_e32 v136, v139, v136
	v_add_f32_e32 v139, v205, v159
	;; [unrolled: 3-line block ×4, first 2 shown]
	v_mul_f32_e32 v186, 0xbf763a35, v104
	v_mul_f32_e32 v229, 0x3ee437d1, v126
	v_add_f32_e32 v136, v139, v136
	v_add_f32_e32 v139, v223, v177
	v_mul_f32_e32 v192, 0x3f06c442, v106
	v_add_f32_e32 v136, v139, v136
	v_add_f32_e32 v139, v229, v181
	v_sub_f32_e32 v133, v133, v186
	v_mul_f32_e32 v198, 0x3f2c7751, v108
	v_add_f32_e32 v181, v139, v136
	v_add_f32_e32 v133, v57, v133
	v_sub_f32_e32 v136, v141, v192
	v_mul_f32_e32 v204, 0xbf65296c, v111
	v_add_f32_e32 v133, v136, v133
	v_sub_f32_e32 v136, v150, v198
	v_mul_f32_e32 v210, 0xbe3c28d5, v115
	;; [unrolled: 3-line block ×5, first 2 shown]
	v_mul_f32_e32 v228, 0xbf4c4adb, v129
	v_add_f32_e32 v133, v136, v133
	v_sub_f32_e32 v136, v175, v222
	v_mul_f32_e32 v191, 0xbf59a7d5, v105
	v_add_f32_e32 v133, v136, v133
	v_sub_f32_e32 v136, v180, v228
	v_add_f32_e32 v130, v185, v130
	v_mul_f32_e32 v197, 0x3f3d2fb0, v107
	v_add_f32_e32 v147, v136, v133
	v_add_f32_e32 v130, v56, v130
	;; [unrolled: 1-line block ×3, first 2 shown]
	v_mul_f32_e32 v203, 0x3ee437d1, v109
	v_add_f32_e32 v130, v133, v130
	v_add_f32_e32 v133, v197, v146
	v_mul_f32_e32 v209, 0xbf7ba420, v113
	v_add_f32_e32 v130, v133, v130
	v_add_f32_e32 v133, v203, v154
	;; [unrolled: 3-line block ×4, first 2 shown]
	v_mul_f32_e32 v184, 0xbf7ee86f, v104
	v_mul_f32_e32 v227, 0xbf1a4643, v126
	v_add_f32_e32 v130, v133, v130
	v_add_f32_e32 v133, v221, v172
	v_mul_f32_e32 v190, 0xbe3c28d5, v106
	v_add_f32_e32 v130, v133, v130
	v_add_f32_e32 v133, v227, v178
	v_sub_f32_e32 v127, v127, v184
	v_mul_f32_e32 v196, 0x3f763a35, v108
	v_add_f32_e32 v146, v133, v130
	v_add_f32_e32 v127, v57, v127
	v_sub_f32_e32 v130, v135, v190
	v_mul_f32_e32 v202, 0x3eb8f4ab, v111
	v_add_f32_e32 v127, v130, v127
	v_sub_f32_e32 v130, v143, v196
	v_mul_f32_e32 v208, 0xbf65296c, v115
	;; [unrolled: 3-line block ×5, first 2 shown]
	v_mul_f32_e32 v226, 0x3f2c7751, v129
	v_add_f32_e32 v127, v130, v127
	v_sub_f32_e32 v130, v170, v220
	v_mul_f32_e32 v189, 0xbf7ba420, v105
	v_add_f32_e32 v127, v130, v127
	v_sub_f32_e32 v130, v176, v226
	v_add_f32_e32 v124, v183, v124
	v_mul_f32_e32 v195, 0xbe8c1d8e, v107
	v_add_f32_e32 v133, v130, v127
	v_add_f32_e32 v124, v56, v124
	;; [unrolled: 1-line block ×3, first 2 shown]
	v_mul_f32_e32 v201, 0x3f6eb680, v109
	v_add_f32_e32 v124, v127, v124
	v_add_f32_e32 v127, v195, v140
	v_mul_f32_e32 v207, 0x3ee437d1, v113
	v_add_f32_e32 v124, v127, v124
	v_add_f32_e32 v127, v201, v148
	;; [unrolled: 3-line block ×5, first 2 shown]
	v_add_f32_e32 v124, v127, v124
	v_add_f32_e32 v127, v225, v174
	;; [unrolled: 1-line block ×3, first 2 shown]
	v_mul_f32_e32 v127, 0x3ee437d1, v112
	v_mov_b32_e32 v124, v127
	v_mul_f32_e32 v130, 0xbf1a4643, v116
	v_fmac_f32_e32 v124, 0x3f65296c, v104
	v_mov_b32_e32 v135, v130
	v_add_f32_e32 v124, v57, v124
	v_fmac_f32_e32 v135, 0x3f4c4adb, v106
	v_mul_f32_e32 v137, 0xbf7ba420, v120
	v_add_f32_e32 v124, v135, v124
	v_mov_b32_e32 v135, v137
	v_fmac_f32_e32 v135, 0xbe3c28d5, v108
	v_mul_f32_e32 v141, 0xbe8c1d8e, v125
	v_add_f32_e32 v124, v135, v124
	v_mov_b32_e32 v135, v141
	;; [unrolled: 4-line block ×7, first 2 shown]
	v_mul_f32_e32 v152, 0xbf4c4adb, v114
	v_fmac_f32_e32 v124, 0x3ee437d1, v103
	v_mov_b32_e32 v135, v152
	v_add_f32_e32 v124, v56, v124
	v_fmac_f32_e32 v135, 0xbf1a4643, v105
	v_mul_f32_e32 v154, 0x3e3c28d5, v118
	v_add_f32_e32 v124, v135, v124
	v_mov_b32_e32 v135, v154
	v_add_f32_e32 v59, v59, v57
	v_fmac_f32_e32 v135, 0xbf7ba420, v107
	v_mul_f32_e32 v155, 0x3f763a35, v122
	v_add_f32_e32 v59, v61, v59
	v_add_f32_e32 v124, v135, v124
	v_mov_b32_e32 v135, v155
	v_add_f32_e32 v59, v63, v59
	v_fmac_f32_e32 v135, 0xbe8c1d8e, v109
	v_mul_f32_e32 v156, 0x3f2c7751, v128
	v_add_f32_e32 v59, v65, v59
	;; [unrolled: 6-line block ×6, first 2 shown]
	v_add_f32_e32 v135, v135, v124
	v_mov_b32_e32 v124, v160
	v_mul_f32_e32 v161, 0x3dbcf732, v116
	v_add_f32_e32 v53, v55, v53
	v_fmac_f32_e32 v124, 0x3f2c7751, v104
	v_mov_b32_e32 v139, v161
	v_add_f32_e32 v1, v1, v53
	v_add_f32_e32 v124, v57, v124
	v_fmac_f32_e32 v139, 0x3f7ee86f, v106
	v_mul_f32_e32 v162, 0xbf1a4643, v120
	v_add_f32_e32 v1, v3, v1
	v_add_f32_e32 v3, v58, v56
	;; [unrolled: 1-line block ×3, first 2 shown]
	v_mov_b32_e32 v139, v162
	v_add_f32_e32 v3, v60, v3
	v_fmac_f32_e32 v139, 0x3f4c4adb, v108
	v_mul_f32_e32 v163, 0xbf7ba420, v125
	v_add_f32_e32 v3, v62, v3
	v_add_f32_e32 v124, v139, v124
	v_mov_b32_e32 v139, v163
	v_add_f32_e32 v3, v64, v3
	v_fmac_f32_e32 v139, 0x3e3c28d5, v111
	v_mul_f32_e32 v164, 0xbf59a7d5, v131
	v_add_f32_e32 v3, v66, v3
	v_add_f32_e32 v124, v139, v124
	;; [unrolled: 6-line block ×6, first 2 shown]
	v_mov_b32_e32 v124, v168
	v_mul_f32_e32 v169, 0xbf7ee86f, v114
	v_add_f32_e32 v0, v0, v3
	v_fmac_f32_e32 v127, 0xbf65296c, v104
	v_fmac_f32_e32 v124, 0x3f3d2fb0, v103
	v_mov_b32_e32 v139, v169
	v_add_f32_e32 v0, v2, v0
	v_add_f32_e32 v2, v57, v127
	v_fmac_f32_e32 v130, 0xbf4c4adb, v106
	v_add_f32_e32 v124, v56, v124
	v_fmac_f32_e32 v139, 0x3dbcf732, v105
	v_mul_f32_e32 v170, 0xbf4c4adb, v118
	v_add_f32_e32 v2, v130, v2
	v_fmac_f32_e32 v137, 0x3e3c28d5, v108
	v_add_f32_e32 v124, v139, v124
	v_mov_b32_e32 v139, v170
	v_add_f32_e32 v2, v137, v2
	v_fmac_f32_e32 v141, 0x3f763a35, v111
	v_fmac_f32_e32 v139, 0xbf1a4643, v107
	v_mul_f32_e32 v171, 0xbe3c28d5, v122
	v_add_f32_e32 v2, v141, v2
	v_fmac_f32_e32 v143, 0x3f2c7751, v115
	v_add_f32_e32 v124, v139, v124
	v_mov_b32_e32 v139, v171
	v_add_f32_e32 v2, v143, v2
	v_fmac_f32_e32 v144, 0xbeb8f4ab, v119
	;; [unrolled: 8-line block ×3, first 2 shown]
	v_fmac_f32_e32 v139, 0xbf59a7d5, v113
	v_mul_f32_e32 v173, 0x3f763a35, v134
	v_add_f32_e32 v3, v150, v2
	v_fma_f32 v2, v103, s19, -v151
	v_add_f32_e32 v124, v139, v124
	v_mov_b32_e32 v139, v173
	v_add_f32_e32 v2, v56, v2
	v_fma_f32 v52, v105, s16, -v152
	v_fmac_f32_e32 v139, 0xbe8c1d8e, v117
	v_mul_f32_e32 v174, 0x3f65296c, v142
	v_add_f32_e32 v2, v52, v2
	v_fma_f32 v52, v107, s18, -v154
	v_add_f32_e32 v124, v139, v124
	v_mov_b32_e32 v139, v174
	v_add_f32_e32 v2, v52, v2
	v_fma_f32 v52, v109, s15, -v155
	;; [unrolled: 8-line block ×3, first 2 shown]
	v_fmac_f32_e32 v139, 0x3f6eb680, v126
	v_mul_f32_e32 v112, 0x3f6eb680, v112
	v_add_f32_e32 v2, v52, v2
	v_fma_f32 v52, v121, s14, -v158
	v_add_f32_e32 v139, v139, v124
	v_mov_b32_e32 v124, v112
	v_mul_f32_e32 v116, 0x3f3d2fb0, v116
	v_add_f32_e32 v2, v52, v2
	v_fma_f32 v52, v126, s17, -v159
	v_fmac_f32_e32 v160, 0xbf2c7751, v104
	v_fmac_f32_e32 v124, 0x3eb8f4ab, v104
	v_mov_b32_e32 v176, v116
	v_add_f32_e32 v2, v52, v2
	v_add_f32_e32 v52, v57, v160
	v_fmac_f32_e32 v161, 0xbf7ee86f, v106
	v_add_f32_e32 v124, v57, v124
	v_fmac_f32_e32 v176, 0x3f2c7751, v106
	v_mul_f32_e32 v120, 0x3ee437d1, v120
	v_add_f32_e32 v52, v161, v52
	v_fmac_f32_e32 v162, 0xbf4c4adb, v108
	v_add_f32_e32 v124, v176, v124
	v_mov_b32_e32 v176, v120
	v_add_f32_e32 v52, v162, v52
	v_fmac_f32_e32 v163, 0xbe3c28d5, v111
	v_fmac_f32_e32 v176, 0x3f65296c, v108
	v_add_f32_e32 v52, v163, v52
	v_fmac_f32_e32 v164, 0x3f06c442, v115
	v_add_f32_e32 v124, v176, v124
	v_mul_f32_e32 v176, 0x3dbcf732, v125
	v_add_f32_e32 v52, v164, v52
	v_fmac_f32_e32 v165, 0x3f763a35, v119
	v_mov_b32_e32 v125, v176
	v_add_f32_e32 v52, v165, v52
	v_fmac_f32_e32 v166, 0x3f65296c, v123
	v_fmac_f32_e32 v125, 0x3f7ee86f, v111
	v_mul_f32_e32 v131, 0xbe8c1d8e, v131
	v_add_f32_e32 v52, v166, v52
	v_fmac_f32_e32 v167, 0x3eb8f4ab, v129
	v_add_f32_e32 v124, v125, v124
	v_mov_b32_e32 v125, v131
	v_add_f32_e32 v53, v167, v52
	v_fma_f32 v52, v103, s21, -v168
	v_fmac_f32_e32 v125, 0x3f763a35, v115
	v_mul_f32_e32 v138, 0xbf1a4643, v138
	v_add_f32_e32 v52, v56, v52
	v_fma_f32 v54, v105, s14, -v169
	v_add_f32_e32 v124, v125, v124
	v_mov_b32_e32 v125, v138
	v_add_f32_e32 v52, v54, v52
	v_fma_f32 v54, v107, s16, -v170
	v_fmac_f32_e32 v125, 0x3f4c4adb, v119
	v_mul_f32_e32 v145, 0xbf59a7d5, v145
	v_add_f32_e32 v52, v54, v52
	v_fma_f32 v54, v109, s18, -v171
	;; [unrolled: 8-line block ×4, first 2 shown]
	v_fmac_f32_e32 v112, 0xbeb8f4ab, v104
	v_add_f32_e32 v125, v125, v124
	v_mov_b32_e32 v124, v110
	v_mul_f32_e32 v114, 0xbf2c7751, v114
	v_add_f32_e32 v52, v54, v52
	v_add_f32_e32 v54, v57, v112
	v_fmac_f32_e32 v116, 0xbf2c7751, v106
	v_fmac_f32_e32 v124, 0x3f6eb680, v103
	v_mov_b32_e32 v177, v114
	v_add_f32_e32 v54, v116, v54
	v_fmac_f32_e32 v120, 0xbf65296c, v108
	v_add_f32_e32 v124, v56, v124
	v_fmac_f32_e32 v177, 0x3f3d2fb0, v105
	v_mul_f32_e32 v118, 0xbf65296c, v118
	v_add_f32_e32 v54, v120, v54
	v_fmac_f32_e32 v176, 0xbf7ee86f, v111
	v_add_f32_e32 v124, v177, v124
	v_mov_b32_e32 v177, v118
	v_add_f32_e32 v54, v176, v54
	v_fmac_f32_e32 v131, 0xbf763a35, v115
	v_fmac_f32_e32 v177, 0x3ee437d1, v107
	v_mul_f32_e32 v122, 0xbf7ee86f, v122
	v_add_f32_e32 v54, v131, v54
	v_fmac_f32_e32 v138, 0xbf4c4adb, v119
	v_add_f32_e32 v124, v177, v124
	v_mov_b32_e32 v177, v122
	v_add_f32_e32 v54, v138, v54
	v_fmac_f32_e32 v145, 0xbf06c442, v123
	v_fmac_f32_e32 v177, 0x3dbcf732, v109
	v_mul_f32_e32 v128, 0xbf763a35, v128
	v_add_f32_e32 v54, v145, v54
	v_fmac_f32_e32 v153, 0xbe3c28d5, v129
	v_add_f32_e32 v124, v177, v124
	v_mov_b32_e32 v177, v128
	v_add_f32_e32 v55, v153, v54
	v_fma_f32 v54, v103, s20, -v110
	v_fmac_f32_e32 v177, 0xbe8c1d8e, v113
	v_mul_f32_e32 v134, 0xbf4c4adb, v134
	v_add_f32_e32 v54, v56, v54
	v_fma_f32 v56, v105, s21, -v114
	v_add_f32_e32 v124, v177, v124
	v_mov_b32_e32 v177, v134
	v_add_f32_e32 v54, v56, v54
	v_fma_f32 v56, v107, s19, -v118
	v_fmac_f32_e32 v177, 0xbf1a4643, v117
	v_mul_f32_e32 v142, 0xbf06c442, v142
	v_add_f32_e32 v54, v56, v54
	v_fma_f32 v56, v109, s14, -v122
	;; [unrolled: 8-line block ×3, first 2 shown]
	v_add_f32_e32 v124, v177, v124
	v_mov_b32_e32 v177, v149
	v_add_f32_e32 v54, v56, v54
	v_fma_f32 v56, v121, s17, -v142
	v_fmac_f32_e32 v177, 0xbf7ba420, v126
	v_add_f32_e32 v54, v56, v54
	v_fma_f32 v56, v126, s18, -v149
	v_add_f32_e32 v124, v177, v124
	v_add_f32_e32 v1, v94, v1
	;; [unrolled: 1-line block ×4, first 2 shown]
	v_lshlrev_b32_e32 v56, 3, v99
	ds_write2_b64 v56, v[0:1], v[124:125] offset1:1
	ds_write2_b64 v56, v[139:140], v[135:136] offset0:2 offset1:3
	ds_write2_b64 v56, v[132:133], v[146:147] offset0:4 offset1:5
	;; [unrolled: 1-line block ×7, first 2 shown]
	ds_write_b64 v56, v[54:55] offset:128
.LBB0_17:
	s_or_b64 exec, exec, s[12:13]
	v_add_u32_e32 v52, 0xd00, v97
	s_waitcnt lgkmcnt(0)
	s_barrier
	ds_read2_b64 v[56:59], v52 offset0:26 offset1:247
	v_add_u32_e32 v52, 0x1b00, v97
	ds_read2_b64 v[0:3], v97 offset1:221
	ds_read2_b64 v[52:55], v52 offset0:20 offset1:241
	ds_read_b64 v[60:61], v97 offset:10608
	s_and_saveexec_b64 s[12:13], s[2:3]
	s_cbranch_execz .LBB0_19
; %bb.18:
	v_add_u32_e32 v62, 0xa00, v97
	ds_read2_b64 v[88:91], v62 offset0:20 offset1:241
	v_add_u32_e32 v62, 0x1800, v97
	ds_read2_b64 v[84:87], v62 offset0:14 offset1:235
	v_add_u32_e32 v62, 0x2600, v97
	ds_read_b64 v[95:96], v97 offset:952
	ds_read2_b64 v[80:83], v62 offset0:8 offset1:229
.LBB0_19:
	s_or_b64 exec, exec, s[12:13]
	s_waitcnt lgkmcnt(2)
	v_mul_f32_e32 v62, v21, v3
	v_fmac_f32_e32 v62, v20, v2
	v_mul_f32_e32 v2, v21, v2
	v_mul_f32_e32 v21, v17, v59
	;; [unrolled: 1-line block ×3, first 2 shown]
	v_fma_f32 v2, v20, v3, -v2
	v_mul_f32_e32 v3, v23, v57
	v_mul_f32_e32 v20, v23, v56
	v_fmac_f32_e32 v21, v16, v58
	v_fma_f32 v16, v16, v59, -v17
	s_waitcnt lgkmcnt(1)
	v_mul_f32_e32 v17, v19, v53
	v_mul_f32_e32 v19, v19, v52
	v_fmac_f32_e32 v3, v22, v56
	v_fma_f32 v20, v22, v57, -v20
	v_fmac_f32_e32 v17, v18, v52
	v_fma_f32 v18, v18, v53, -v19
	v_mul_f32_e32 v19, v25, v55
	v_mul_f32_e32 v22, v25, v54
	v_fmac_f32_e32 v19, v24, v54
	v_fma_f32 v22, v24, v55, -v22
	s_waitcnt lgkmcnt(0)
	v_mul_f32_e32 v23, v27, v61
	v_mul_f32_e32 v24, v27, v60
	v_fmac_f32_e32 v23, v26, v60
	v_fma_f32 v24, v26, v61, -v24
	v_add_f32_e32 v25, v62, v23
	v_add_f32_e32 v26, v2, v24
	v_sub_f32_e32 v2, v2, v24
	v_add_f32_e32 v24, v3, v19
	v_add_f32_e32 v27, v20, v22
	v_sub_f32_e32 v3, v3, v19
	v_sub_f32_e32 v19, v20, v22
	v_add_f32_e32 v20, v21, v17
	v_add_f32_e32 v22, v16, v18
	v_sub_f32_e32 v16, v18, v16
	v_add_f32_e32 v18, v24, v25
	v_sub_f32_e32 v17, v17, v21
	v_add_f32_e32 v21, v27, v26
	v_add_f32_e32 v18, v20, v18
	v_sub_f32_e32 v52, v24, v25
	v_sub_f32_e32 v25, v25, v20
	;; [unrolled: 1-line block ×3, first 2 shown]
	v_add_f32_e32 v20, v22, v21
	v_add_f32_e32 v0, v0, v18
	v_sub_f32_e32 v23, v62, v23
	v_sub_f32_e32 v53, v27, v26
	;; [unrolled: 1-line block ×4, first 2 shown]
	v_add_f32_e32 v54, v17, v3
	v_add_f32_e32 v55, v16, v19
	v_sub_f32_e32 v56, v17, v3
	v_sub_f32_e32 v57, v16, v19
	v_add_f32_e32 v1, v1, v20
	v_mov_b32_e32 v58, v0
	v_sub_f32_e32 v17, v23, v17
	v_sub_f32_e32 v16, v2, v16
	;; [unrolled: 1-line block ×4, first 2 shown]
	v_add_f32_e32 v21, v54, v23
	v_add_f32_e32 v2, v55, v2
	v_mul_f32_e32 v22, 0x3f4a47b2, v25
	v_mul_f32_e32 v23, 0x3f4a47b2, v26
	;; [unrolled: 1-line block ×6, first 2 shown]
	s_mov_b32 s14, 0xbf5ff5aa
	v_fmac_f32_e32 v58, 0xbf955555, v18
	v_mov_b32_e32 v18, v1
	s_mov_b32 s15, 0x3f3bfb3b
	s_mov_b32 s16, 0xbf3bfb3b
	v_mul_f32_e32 v56, 0xbf5ff5aa, v3
	v_mul_f32_e32 v57, 0xbf5ff5aa, v19
	v_fmac_f32_e32 v18, 0xbf955555, v20
	v_fma_f32 v20, v52, s15, -v25
	v_fma_f32 v25, v53, s15, -v26
	;; [unrolled: 1-line block ×3, first 2 shown]
	v_fmac_f32_e32 v22, 0x3d64c772, v24
	v_fma_f32 v24, v53, s16, -v23
	v_fmac_f32_e32 v23, 0x3d64c772, v27
	v_fma_f32 v27, v3, s14, -v54
	;; [unrolled: 2-line block ×3, first 2 shown]
	v_fmac_f32_e32 v55, 0xbeae86e6, v16
	s_mov_b32 s17, 0x3eae86e6
	v_fma_f32 v53, v17, s17, -v56
	v_fma_f32 v56, v16, s17, -v57
	v_add_f32_e32 v57, v22, v58
	v_add_f32_e32 v59, v23, v18
	v_fmac_f32_e32 v54, 0xbee1c552, v21
	v_fmac_f32_e32 v55, 0xbee1c552, v2
	v_add_f32_e32 v20, v20, v58
	v_add_f32_e32 v22, v25, v18
	;; [unrolled: 1-line block ×4, first 2 shown]
	v_fmac_f32_e32 v27, 0xbee1c552, v21
	v_fmac_f32_e32 v52, 0xbee1c552, v2
	;; [unrolled: 1-line block ×4, first 2 shown]
	v_add_f32_e32 v2, v55, v57
	v_sub_f32_e32 v3, v59, v54
	v_add_f32_e32 v16, v56, v23
	v_sub_f32_e32 v17, v24, v53
	v_sub_f32_e32 v18, v20, v52
	v_add_f32_e32 v19, v27, v22
	v_add_f32_e32 v20, v52, v20
	v_sub_f32_e32 v21, v22, v27
	v_sub_f32_e32 v22, v23, v56
	v_add_f32_e32 v23, v53, v24
	v_sub_f32_e32 v24, v57, v55
	v_add_f32_e32 v25, v54, v59
	s_barrier
	ds_write2_b64 v102, v[0:1], v[2:3] offset1:17
	ds_write2_b64 v102, v[16:17], v[18:19] offset0:34 offset1:51
	ds_write2_b64 v102, v[20:21], v[22:23] offset0:68 offset1:85
	ds_write_b64 v102, v[24:25] offset:816
	s_and_saveexec_b64 s[12:13], s[2:3]
	s_cbranch_execz .LBB0_21
; %bb.20:
	v_mul_f32_e32 v0, v5, v89
	v_mul_f32_e32 v2, v11, v83
	;; [unrolled: 1-line block ×6, first 2 shown]
	v_fmac_f32_e32 v0, v4, v88
	v_fmac_f32_e32 v2, v10, v82
	;; [unrolled: 1-line block ×6, first 2 shown]
	v_sub_f32_e32 v16, v0, v2
	v_sub_f32_e32 v1, v17, v18
	;; [unrolled: 1-line block ×5, first 2 shown]
	v_add_f32_e32 v1, v1, v22
	v_add_f32_e32 v25, v1, v16
	v_mul_f32_e32 v1, v11, v82
	v_fma_f32 v10, v10, v83, -v1
	v_mul_f32_e32 v1, v5, v88
	v_fma_f32 v4, v4, v89, -v1
	;; [unrolled: 2-line block ×4, first 2 shown]
	v_add_f32_e32 v26, v2, v0
	v_add_f32_e32 v0, v18, v17
	;; [unrolled: 1-line block ×4, first 2 shown]
	v_sub_f32_e32 v2, v26, v0
	v_mul_f32_e32 v23, 0x3f08b237, v3
	v_sub_f32_e32 v3, v5, v1
	v_mul_f32_e32 v17, 0x3f4a47b2, v2
	v_add_f32_e32 v18, v21, v20
	v_mul_f32_e32 v13, 0x3f4a47b2, v3
	v_mul_f32_e32 v3, v9, v80
	v_sub_f32_e32 v2, v0, v18
	v_mov_b32_e32 v21, v17
	v_fma_f32 v8, v8, v81, -v3
	v_mul_f32_e32 v3, v7, v90
	v_mul_f32_e32 v20, 0x3d64c772, v2
	v_fmac_f32_e32 v21, 0x3d64c772, v2
	v_add_f32_e32 v2, v18, v26
	v_fma_f32 v6, v6, v91, -v3
	v_add_f32_e32 v2, v0, v2
	v_add_f32_e32 v7, v8, v6
	;; [unrolled: 1-line block ×3, first 2 shown]
	v_sub_f32_e32 v3, v1, v7
	v_mov_b32_e32 v14, v13
	v_mov_b32_e32 v27, v0
	v_mul_f32_e32 v9, 0x3d64c772, v3
	v_fmac_f32_e32 v14, 0x3d64c772, v3
	v_add_f32_e32 v3, v7, v5
	v_fmac_f32_e32 v27, 0xbf955555, v2
	v_sub_f32_e32 v2, v12, v11
	v_sub_f32_e32 v6, v6, v8
	v_add_f32_e32 v3, v1, v3
	v_sub_f32_e32 v4, v4, v10
	v_sub_f32_e32 v8, v2, v6
	v_add_f32_e32 v1, v96, v3
	v_sub_f32_e32 v10, v4, v2
	v_mul_f32_e32 v8, 0x3f08b237, v8
	v_add_f32_e32 v2, v2, v6
	v_sub_f32_e32 v16, v22, v16
	v_sub_f32_e32 v6, v6, v4
	v_mov_b32_e32 v24, v23
	v_mov_b32_e32 v15, v1
	;; [unrolled: 1-line block ×3, first 2 shown]
	v_add_f32_e32 v11, v2, v4
	v_mul_f32_e32 v22, 0xbf5ff5aa, v16
	v_sub_f32_e32 v7, v7, v5
	v_sub_f32_e32 v18, v18, v26
	v_mul_f32_e32 v4, 0xbf5ff5aa, v6
	v_fmac_f32_e32 v24, 0xbeae86e6, v19
	v_fmac_f32_e32 v15, 0xbf955555, v3
	;; [unrolled: 1-line block ×3, first 2 shown]
	v_fma_f32 v19, v19, s17, -v22
	v_fma_f32 v5, v7, s16, -v13
	;; [unrolled: 1-line block ×5, first 2 shown]
	v_fmac_f32_e32 v24, 0xbee1c552, v25
	v_add_f32_e32 v14, v14, v15
	v_fmac_f32_e32 v12, 0xbee1c552, v11
	v_fmac_f32_e32 v19, 0xbee1c552, v25
	v_add_f32_e32 v13, v5, v15
	v_fmac_f32_e32 v10, 0xbee1c552, v11
	v_fma_f32 v7, v7, s15, -v9
	v_fmac_f32_e32 v8, 0xbee1c552, v11
	v_add_f32_e32 v11, v6, v27
	v_add_f32_e32 v3, v24, v14
	;; [unrolled: 1-line block ×4, first 2 shown]
	v_fma_f32 v17, v18, s16, -v17
	v_add_f32_e32 v9, v7, v15
	v_fma_f32 v15, v16, s14, -v23
	v_add_f32_e32 v6, v8, v11
	v_sub_f32_e32 v8, v11, v8
	v_sub_f32_e32 v11, v13, v19
	;; [unrolled: 1-line block ×3, first 2 shown]
	v_mul_u32_u24_e32 v14, 0x77, v100
	v_sub_f32_e32 v2, v21, v12
	v_add_f32_e32 v17, v17, v27
	v_fmac_f32_e32 v15, 0xbee1c552, v25
	v_add_f32_e32 v12, v12, v21
	v_add_lshl_u32 v14, v14, v101, 3
	v_sub_f32_e32 v4, v17, v10
	v_sub_f32_e32 v7, v9, v15
	v_add_f32_e32 v9, v15, v9
	v_add_f32_e32 v10, v10, v17
	ds_write2_b64 v14, v[0:1], v[12:13] offset1:17
	ds_write2_b64 v14, v[10:11], v[8:9] offset0:34 offset1:51
	ds_write2_b64 v14, v[6:7], v[4:5] offset0:68 offset1:85
	ds_write_b64 v14, v[2:3] offset:816
.LBB0_21:
	s_or_b64 exec, exec, s[12:13]
	s_waitcnt lgkmcnt(0)
	s_barrier
	ds_read_b64 v[25:26], v97
	ds_read2_b64 v[5:8], v97 offset0:119 offset1:238
	v_add_u32_e32 v4, 0x800, v97
	ds_read2_b64 v[9:12], v4 offset0:101 offset1:220
	v_add_u32_e32 v3, 0x1000, v97
	ds_read2_b64 v[13:16], v3 offset0:83 offset1:202
	s_waitcnt lgkmcnt(2)
	v_mul_f32_e32 v27, v45, v6
	v_add_u32_e32 v2, 0x1800, v97
	v_fmac_f32_e32 v27, v44, v5
	v_mul_f32_e32 v5, v45, v5
	ds_read2_b64 v[17:20], v2 offset0:65 offset1:184
	v_fma_f32 v44, v44, v6, -v5
	v_mul_f32_e32 v45, v47, v8
	v_mul_f32_e32 v5, v47, v7
	v_add_u32_e32 v1, 0x2000, v97
	v_fmac_f32_e32 v45, v46, v7
	v_fma_f32 v7, v46, v8, -v5
	s_waitcnt lgkmcnt(2)
	v_mul_f32_e32 v8, v37, v10
	v_mul_f32_e32 v5, v37, v9
	ds_read2_b64 v[21:24], v1 offset0:47 offset1:166
	v_fmac_f32_e32 v8, v36, v9
	v_fma_f32 v9, v36, v10, -v5
	v_mul_f32_e32 v10, v39, v12
	v_mul_f32_e32 v5, v39, v11
	v_add_u32_e32 v0, 0x2800, v97
	v_fmac_f32_e32 v10, v38, v11
	v_fma_f32 v11, v38, v12, -v5
	s_waitcnt lgkmcnt(2)
	v_mul_f32_e32 v12, v33, v14
	v_mul_f32_e32 v5, v33, v13
	ds_read2_b64 v[52:55], v0 offset0:29 offset1:148
	v_fmac_f32_e32 v12, v32, v13
	v_fma_f32 v13, v32, v14, -v5
	v_mul_f32_e32 v14, v35, v16
	v_mul_f32_e32 v5, v35, v15
	v_fmac_f32_e32 v14, v34, v15
	v_fma_f32 v15, v34, v16, -v5
	s_waitcnt lgkmcnt(2)
	v_mul_f32_e32 v16, v29, v18
	v_mul_f32_e32 v5, v29, v17
	v_fmac_f32_e32 v16, v28, v17
	v_fma_f32 v17, v28, v18, -v5
	v_mul_f32_e32 v18, v31, v20
	v_mul_f32_e32 v5, v31, v19
	v_fmac_f32_e32 v18, v30, v19
	v_fma_f32 v19, v30, v20, -v5
	s_waitcnt lgkmcnt(1)
	v_mul_f32_e32 v20, v49, v22
	v_mul_f32_e32 v5, v49, v21
	v_fmac_f32_e32 v20, v48, v21
	v_fma_f32 v21, v48, v22, -v5
	v_mul_f32_e32 v22, v51, v24
	v_mul_f32_e32 v5, v51, v23
	v_fmac_f32_e32 v22, v50, v23
	v_fma_f32 v23, v50, v24, -v5
	s_waitcnt lgkmcnt(0)
	v_mul_f32_e32 v5, v41, v52
	v_fma_f32 v28, v40, v53, -v5
	v_mul_f32_e32 v5, v43, v54
	v_fma_f32 v30, v42, v55, -v5
	v_add_f32_e32 v5, v25, v27
	v_add_f32_e32 v6, v26, v44
	;; [unrolled: 1-line block ×15, first 2 shown]
	v_mul_f32_e32 v24, v41, v53
	v_add_f32_e32 v6, v6, v19
	v_add_f32_e32 v5, v5, v20
	v_fmac_f32_e32 v24, v40, v52
	v_mul_f32_e32 v29, v43, v55
	v_add_f32_e32 v6, v6, v21
	v_add_f32_e32 v5, v5, v22
	v_fmac_f32_e32 v29, v42, v54
	v_add_f32_e32 v6, v6, v23
	v_add_f32_e32 v5, v5, v24
	;; [unrolled: 1-line block ×5, first 2 shown]
	v_sub_f32_e32 v27, v27, v29
	v_sub_f32_e32 v29, v44, v30
	v_add_f32_e32 v6, v6, v30
	v_add_f32_e32 v32, v44, v30
	v_mul_f32_e32 v30, 0xbeedf032, v29
	v_mul_f32_e32 v36, 0xbf52af12, v29
	;; [unrolled: 1-line block ×6, first 2 shown]
	s_mov_b32 s14, 0x3f62ad3f
	v_mov_b32_e32 v33, v30
	s_mov_b32 s13, 0x3f116cb1
	v_mov_b32_e32 v37, v36
	;; [unrolled: 2-line block ×6, first 2 shown]
	v_fmac_f32_e32 v33, 0x3f62ad3f, v31
	v_fma_f32 v30, v31, s14, -v30
	v_fmac_f32_e32 v37, 0x3f116cb1, v31
	v_fma_f32 v36, v31, s13, -v36
	;; [unrolled: 2-line block ×6, first 2 shown]
	v_add_f32_e32 v33, v25, v33
	v_mul_f32_e32 v34, 0x3f62ad3f, v32
	v_add_f32_e32 v30, v25, v30
	v_add_f32_e32 v37, v25, v37
	v_mul_f32_e32 v38, 0x3f116cb1, v32
	v_add_f32_e32 v36, v25, v36
	;; [unrolled: 3-line block ×6, first 2 shown]
	v_add_f32_e32 v29, v7, v28
	v_sub_f32_e32 v7, v7, v28
	v_mov_b32_e32 v35, v34
	v_mov_b32_e32 v39, v38
	;; [unrolled: 1-line block ×6, first 2 shown]
	v_mul_f32_e32 v28, 0xbf52af12, v7
	v_fmac_f32_e32 v35, 0x3eedf032, v27
	v_fmac_f32_e32 v34, 0xbeedf032, v27
	;; [unrolled: 1-line block ×12, first 2 shown]
	v_add_f32_e32 v27, v45, v24
	v_mov_b32_e32 v31, v28
	v_add_f32_e32 v35, v26, v35
	v_add_f32_e32 v34, v26, v34
	;; [unrolled: 1-line block ×12, first 2 shown]
	v_sub_f32_e32 v24, v45, v24
	v_fmac_f32_e32 v31, 0x3f116cb1, v27
	v_mul_f32_e32 v32, 0x3f116cb1, v29
	v_add_f32_e32 v31, v31, v33
	v_mov_b32_e32 v33, v32
	v_fma_f32 v28, v27, s13, -v28
	v_fmac_f32_e32 v32, 0xbf52af12, v24
	v_add_f32_e32 v28, v28, v30
	v_add_f32_e32 v30, v32, v34
	v_mul_f32_e32 v32, 0xbf6f5d39, v7
	v_fmac_f32_e32 v33, 0x3f52af12, v24
	v_mov_b32_e32 v34, v32
	v_add_f32_e32 v33, v33, v35
	v_fmac_f32_e32 v34, 0xbeb58ec6, v27
	v_mul_f32_e32 v35, 0xbeb58ec6, v29
	v_fma_f32 v32, v27, s15, -v32
	v_add_f32_e32 v34, v34, v37
	v_mov_b32_e32 v37, v35
	v_add_f32_e32 v32, v32, v36
	v_fmac_f32_e32 v35, 0xbf6f5d39, v24
	v_mul_f32_e32 v36, 0xbe750f2a, v7
	v_fmac_f32_e32 v37, 0x3f6f5d39, v24
	v_add_f32_e32 v35, v35, v38
	v_mov_b32_e32 v38, v36
	v_add_f32_e32 v37, v37, v39
	v_fmac_f32_e32 v38, 0xbf788fa5, v27
	v_mul_f32_e32 v39, 0xbf788fa5, v29
	v_fma_f32 v36, v27, s17, -v36
	v_add_f32_e32 v38, v38, v41
	v_mov_b32_e32 v41, v39
	v_add_f32_e32 v36, v36, v40
	v_fmac_f32_e32 v39, 0xbe750f2a, v24
	v_mul_f32_e32 v40, 0x3f29c268, v7
	v_fmac_f32_e32 v41, 0x3e750f2a, v24
	v_add_f32_e32 v39, v39, v42
	v_mov_b32_e32 v42, v40
	v_fma_f32 v40, v27, s16, -v40
	v_add_f32_e32 v41, v41, v43
	v_fmac_f32_e32 v42, 0xbf3f9e67, v27
	v_mul_f32_e32 v43, 0xbf3f9e67, v29
	v_add_f32_e32 v40, v40, v44
	v_mul_f32_e32 v44, 0x3f7e222b, v7
	v_add_f32_e32 v42, v42, v46
	v_mov_b32_e32 v45, v43
	v_fmac_f32_e32 v43, 0x3f29c268, v24
	v_mov_b32_e32 v46, v44
	v_fmac_f32_e32 v45, 0xbf29c268, v24
	v_add_f32_e32 v43, v43, v47
	v_fmac_f32_e32 v46, 0x3df6dbef, v27
	v_mul_f32_e32 v47, 0x3df6dbef, v29
	v_mul_f32_e32 v29, 0x3f62ad3f, v29
	v_add_f32_e32 v45, v45, v48
	v_add_f32_e32 v46, v46, v50
	v_mov_b32_e32 v48, v47
	v_fma_f32 v44, v27, s12, -v44
	v_mul_f32_e32 v7, 0x3eedf032, v7
	v_mov_b32_e32 v50, v29
	v_fmac_f32_e32 v29, 0x3eedf032, v24
	v_fmac_f32_e32 v48, 0xbf7e222b, v24
	v_add_f32_e32 v44, v44, v49
	v_fmac_f32_e32 v47, 0x3f7e222b, v24
	v_mov_b32_e32 v49, v7
	v_fmac_f32_e32 v50, 0xbeedf032, v24
	v_fma_f32 v7, v27, s14, -v7
	v_add_f32_e32 v24, v29, v26
	v_add_f32_e32 v26, v9, v23
	v_sub_f32_e32 v9, v9, v23
	v_add_f32_e32 v7, v7, v25
	v_add_f32_e32 v25, v8, v22
	v_sub_f32_e32 v8, v8, v22
	v_mul_f32_e32 v22, 0xbf7e222b, v9
	v_fmac_f32_e32 v49, 0x3f62ad3f, v27
	v_mov_b32_e32 v23, v22
	v_mul_f32_e32 v27, 0x3df6dbef, v26
	v_fma_f32 v22, v25, s12, -v22
	v_mov_b32_e32 v29, v27
	v_add_f32_e32 v22, v22, v28
	v_fmac_f32_e32 v27, 0xbf7e222b, v8
	v_mul_f32_e32 v28, 0xbe750f2a, v9
	v_fmac_f32_e32 v23, 0x3df6dbef, v25
	v_add_f32_e32 v27, v27, v30
	v_mov_b32_e32 v30, v28
	v_fma_f32 v28, v25, s17, -v28
	v_add_f32_e32 v23, v23, v31
	v_fmac_f32_e32 v29, 0x3f7e222b, v8
	v_fmac_f32_e32 v30, 0xbf788fa5, v25
	v_mul_f32_e32 v31, 0xbf788fa5, v26
	v_add_f32_e32 v28, v28, v32
	v_mul_f32_e32 v32, 0x3f6f5d39, v9
	v_add_f32_e32 v29, v29, v33
	v_add_f32_e32 v30, v30, v34
	v_mov_b32_e32 v33, v31
	v_fmac_f32_e32 v31, 0xbe750f2a, v8
	v_mov_b32_e32 v34, v32
	v_fma_f32 v32, v25, s15, -v32
	v_fmac_f32_e32 v33, 0x3e750f2a, v8
	v_add_f32_e32 v31, v31, v35
	v_fmac_f32_e32 v34, 0xbeb58ec6, v25
	v_mul_f32_e32 v35, 0xbeb58ec6, v26
	v_add_f32_e32 v32, v32, v36
	v_mul_f32_e32 v36, 0x3eedf032, v9
	v_add_f32_e32 v33, v33, v37
	v_add_f32_e32 v34, v34, v38
	v_mov_b32_e32 v37, v35
	v_fmac_f32_e32 v35, 0x3f6f5d39, v8
	v_mov_b32_e32 v38, v36
	v_fma_f32 v36, v25, s14, -v36
	v_fmac_f32_e32 v37, 0xbf6f5d39, v8
	v_add_f32_e32 v35, v35, v39
	v_fmac_f32_e32 v38, 0x3f62ad3f, v25
	v_mul_f32_e32 v39, 0x3f62ad3f, v26
	v_add_f32_e32 v36, v36, v40
	v_mul_f32_e32 v40, 0xbf52af12, v9
	v_add_f32_e32 v37, v37, v41
	v_add_f32_e32 v38, v38, v42
	v_mov_b32_e32 v41, v39
	v_fmac_f32_e32 v39, 0x3eedf032, v8
	v_mov_b32_e32 v42, v40
	v_fmac_f32_e32 v41, 0xbeedf032, v8
	v_add_f32_e32 v39, v39, v43
	v_fmac_f32_e32 v42, 0x3f116cb1, v25
	v_mul_f32_e32 v43, 0x3f116cb1, v26
	v_mul_f32_e32 v26, 0xbf3f9e67, v26
	v_add_f32_e32 v41, v41, v45
	v_add_f32_e32 v42, v42, v46
	v_mov_b32_e32 v45, v43
	v_fma_f32 v40, v25, s13, -v40
	v_mul_f32_e32 v9, 0xbf29c268, v9
	v_mov_b32_e32 v46, v26
	v_fmac_f32_e32 v26, 0xbf29c268, v8
	v_fmac_f32_e32 v45, 0x3f52af12, v8
	v_add_f32_e32 v40, v40, v44
	v_fmac_f32_e32 v43, 0xbf52af12, v8
	v_mov_b32_e32 v44, v9
	v_fmac_f32_e32 v46, 0x3f29c268, v8
	v_fma_f32 v9, v25, s16, -v9
	v_add_f32_e32 v8, v26, v24
	v_add_f32_e32 v24, v11, v21
	v_sub_f32_e32 v11, v11, v21
	v_add_f32_e32 v7, v9, v7
	v_add_f32_e32 v9, v10, v20
	v_sub_f32_e32 v10, v10, v20
	v_mul_f32_e32 v20, 0xbf6f5d39, v11
	v_mov_b32_e32 v21, v20
	v_fmac_f32_e32 v21, 0xbeb58ec6, v9
	v_add_f32_e32 v21, v21, v23
	v_mul_f32_e32 v23, 0xbeb58ec6, v24
	v_fmac_f32_e32 v44, 0xbf3f9e67, v25
	v_mov_b32_e32 v25, v23
	v_fma_f32 v20, v9, s15, -v20
	v_fmac_f32_e32 v23, 0xbf6f5d39, v10
	v_add_f32_e32 v20, v20, v22
	v_add_f32_e32 v22, v23, v27
	v_mul_f32_e32 v23, 0x3f29c268, v11
	v_mov_b32_e32 v26, v23
	v_fma_f32 v23, v9, s16, -v23
	v_fmac_f32_e32 v26, 0xbf3f9e67, v9
	v_add_f32_e32 v23, v23, v28
	v_mul_f32_e32 v28, 0x3eedf032, v11
	v_fmac_f32_e32 v25, 0x3f6f5d39, v10
	v_add_f32_e32 v26, v26, v30
	v_mul_f32_e32 v27, 0xbf3f9e67, v24
	v_mov_b32_e32 v30, v28
	v_fma_f32 v28, v9, s14, -v28
	v_add_f32_e32 v25, v25, v29
	v_mov_b32_e32 v29, v27
	v_fmac_f32_e32 v27, 0x3f29c268, v10
	v_fmac_f32_e32 v30, 0x3f62ad3f, v9
	v_add_f32_e32 v28, v28, v32
	v_mul_f32_e32 v32, 0xbf7e222b, v11
	v_fmac_f32_e32 v29, 0xbf29c268, v10
	v_add_f32_e32 v27, v27, v31
	v_add_f32_e32 v30, v30, v34
	v_mul_f32_e32 v31, 0x3f62ad3f, v24
	v_mov_b32_e32 v34, v32
	v_fma_f32 v32, v9, s12, -v32
	v_add_f32_e32 v29, v29, v33
	v_mov_b32_e32 v33, v31
	v_fmac_f32_e32 v31, 0x3eedf032, v10
	v_fmac_f32_e32 v34, 0x3df6dbef, v9
	v_add_f32_e32 v32, v32, v36
	v_mul_f32_e32 v36, 0x3e750f2a, v11
	v_fmac_f32_e32 v33, 0xbeedf032, v10
	v_add_f32_e32 v31, v31, v35
	v_add_f32_e32 v34, v34, v38
	v_mul_f32_e32 v35, 0x3df6dbef, v24
	v_mov_b32_e32 v38, v36
	v_fma_f32 v36, v9, s17, -v36
	v_mul_f32_e32 v11, 0x3f52af12, v11
	v_add_f32_e32 v33, v33, v37
	v_mov_b32_e32 v37, v35
	v_fmac_f32_e32 v35, 0xbf7e222b, v10
	v_add_f32_e32 v36, v36, v40
	v_mov_b32_e32 v40, v11
	v_fmac_f32_e32 v37, 0x3f7e222b, v10
	v_add_f32_e32 v35, v35, v39
	v_fmac_f32_e32 v38, 0xbf788fa5, v9
	v_mul_f32_e32 v39, 0xbf788fa5, v24
	v_fmac_f32_e32 v40, 0x3f116cb1, v9
	v_mul_f32_e32 v24, 0x3f116cb1, v24
	v_fma_f32 v9, v9, s13, -v11
	v_add_f32_e32 v37, v37, v41
	v_add_f32_e32 v38, v38, v42
	v_mov_b32_e32 v41, v39
	v_mov_b32_e32 v42, v24
	v_add_f32_e32 v7, v9, v7
	v_add_f32_e32 v9, v12, v18
	v_sub_f32_e32 v11, v12, v18
	v_sub_f32_e32 v12, v13, v19
	v_fmac_f32_e32 v41, 0xbe750f2a, v10
	v_fmac_f32_e32 v39, 0x3e750f2a, v10
	;; [unrolled: 1-line block ×4, first 2 shown]
	v_add_f32_e32 v10, v13, v19
	v_mul_f32_e32 v13, 0xbf29c268, v12
	v_mov_b32_e32 v18, v13
	v_fmac_f32_e32 v18, 0xbf3f9e67, v9
	v_mul_f32_e32 v19, 0xbf3f9e67, v10
	v_add_f32_e32 v18, v18, v21
	v_mov_b32_e32 v21, v19
	v_fma_f32 v13, v9, s16, -v13
	v_add_f32_e32 v8, v24, v8
	v_fmac_f32_e32 v21, 0x3f29c268, v11
	v_add_f32_e32 v13, v13, v20
	v_fmac_f32_e32 v19, 0xbf29c268, v11
	v_mul_f32_e32 v20, 0x3f7e222b, v12
	v_mul_f32_e32 v24, 0x3df6dbef, v10
	v_add_f32_e32 v21, v21, v25
	v_add_f32_e32 v19, v19, v22
	v_mov_b32_e32 v22, v20
	v_mov_b32_e32 v25, v24
	v_fma_f32 v20, v9, s12, -v20
	v_fmac_f32_e32 v24, 0x3f7e222b, v11
	v_fmac_f32_e32 v22, 0x3df6dbef, v9
	v_add_f32_e32 v20, v20, v23
	v_add_f32_e32 v23, v24, v27
	v_mul_f32_e32 v24, 0xbf52af12, v12
	v_add_f32_e32 v22, v22, v26
	v_mov_b32_e32 v26, v24
	v_fma_f32 v24, v9, s13, -v24
	v_fmac_f32_e32 v25, 0xbf7e222b, v11
	v_fmac_f32_e32 v26, 0x3f116cb1, v9
	v_mul_f32_e32 v27, 0x3f116cb1, v10
	v_add_f32_e32 v24, v24, v28
	v_mul_f32_e32 v28, 0x3e750f2a, v12
	v_add_f32_e32 v25, v25, v29
	v_add_f32_e32 v26, v26, v30
	v_mov_b32_e32 v29, v27
	v_fmac_f32_e32 v27, 0xbf52af12, v11
	v_mov_b32_e32 v30, v28
	v_fma_f32 v28, v9, s17, -v28
	v_fmac_f32_e32 v29, 0x3f52af12, v11
	v_add_f32_e32 v27, v27, v31
	v_fmac_f32_e32 v30, 0xbf788fa5, v9
	v_mul_f32_e32 v31, 0xbf788fa5, v10
	v_add_f32_e32 v28, v28, v32
	v_mul_f32_e32 v32, 0x3eedf032, v12
	v_add_f32_e32 v29, v29, v33
	v_add_f32_e32 v30, v30, v34
	v_mov_b32_e32 v33, v31
	v_fmac_f32_e32 v31, 0x3e750f2a, v11
	v_mov_b32_e32 v34, v32
	v_add_f32_e32 v50, v50, v54
	v_add_f32_e32 v31, v31, v35
	v_fmac_f32_e32 v34, 0x3f62ad3f, v9
	v_mul_f32_e32 v35, 0x3f62ad3f, v10
	v_mul_f32_e32 v10, 0xbeb58ec6, v10
	v_add_f32_e32 v47, v47, v51
	v_add_f32_e32 v49, v49, v53
	v_add_f32_e32 v46, v46, v50
	v_add_f32_e32 v34, v34, v38
	v_fma_f32 v32, v9, s14, -v32
	v_mul_f32_e32 v12, 0xbf6f5d39, v12
	v_mov_b32_e32 v38, v10
	v_add_f32_e32 v48, v48, v52
	v_add_f32_e32 v43, v43, v47
	;; [unrolled: 1-line block ×4, first 2 shown]
	v_fmac_f32_e32 v33, 0xbe750f2a, v11
	v_add_f32_e32 v32, v32, v36
	v_mov_b32_e32 v36, v12
	v_fmac_f32_e32 v38, 0x3f6f5d39, v11
	v_add_f32_e32 v45, v45, v48
	v_add_f32_e32 v39, v39, v43
	;; [unrolled: 1-line block ×4, first 2 shown]
	v_mov_b32_e32 v37, v35
	v_fmac_f32_e32 v35, 0x3eedf032, v11
	v_fmac_f32_e32 v36, 0xbeb58ec6, v9
	v_add_f32_e32 v38, v38, v42
	v_fma_f32 v9, v9, s15, -v12
	v_fmac_f32_e32 v10, 0xbf6f5d39, v11
	v_add_f32_e32 v42, v15, v17
	v_sub_f32_e32 v44, v15, v17
	v_add_f32_e32 v41, v41, v45
	v_fmac_f32_e32 v37, 0xbeedf032, v11
	v_add_f32_e32 v35, v35, v39
	v_add_f32_e32 v36, v36, v40
	;; [unrolled: 1-line block ×4, first 2 shown]
	v_mul_f32_e32 v9, 0xbe750f2a, v44
	v_mul_f32_e32 v10, 0xbf788fa5, v42
	v_add_f32_e32 v37, v37, v41
	v_add_f32_e32 v41, v14, v16
	v_sub_f32_e32 v43, v14, v16
	v_mov_b32_e32 v7, v9
	v_mov_b32_e32 v8, v10
	v_fmac_f32_e32 v7, 0xbf788fa5, v41
	v_fmac_f32_e32 v8, 0x3e750f2a, v43
	v_add_f32_e32 v7, v7, v18
	v_add_f32_e32 v8, v8, v21
	v_fma_f32 v9, v41, s17, -v9
	v_fmac_f32_e32 v10, 0xbe750f2a, v43
	v_mul_f32_e32 v18, 0xbf3f9e67, v42
	v_mul_f32_e32 v21, 0x3f52af12, v44
	v_add_f32_e32 v9, v9, v13
	v_add_f32_e32 v10, v10, v19
	v_mul_f32_e32 v13, 0x3eedf032, v44
	v_mul_f32_e32 v14, 0x3f62ad3f, v42
	;; [unrolled: 1-line block ×3, first 2 shown]
	v_mov_b32_e32 v16, v18
	v_mov_b32_e32 v19, v21
	;; [unrolled: 1-line block ×5, first 2 shown]
	v_fmac_f32_e32 v16, 0x3f29c268, v43
	v_fmac_f32_e32 v19, 0x3f116cb1, v41
	;; [unrolled: 1-line block ×5, first 2 shown]
	v_add_f32_e32 v16, v16, v29
	v_fmac_f32_e32 v18, 0xbf29c268, v43
	v_add_f32_e32 v19, v19, v30
	v_fma_f32 v21, v41, s13, -v21
	v_mul_f32_e32 v29, 0x3f7e222b, v44
	v_mul_f32_e32 v30, 0x3df6dbef, v42
	v_add_f32_e32 v11, v11, v22
	v_add_f32_e32 v12, v12, v25
	v_fma_f32 v13, v41, s14, -v13
	v_fmac_f32_e32 v14, 0x3eedf032, v43
	v_add_f32_e32 v15, v15, v26
	v_fma_f32 v17, v41, s16, -v17
	v_add_f32_e32 v18, v18, v27
	v_mul_f32_e32 v22, 0x3f116cb1, v42
	v_add_f32_e32 v21, v21, v28
	v_mul_f32_e32 v25, 0xbf6f5d39, v44
	v_mul_f32_e32 v26, 0xbeb58ec6, v42
	v_mov_b32_e32 v27, v29
	v_mov_b32_e32 v28, v30
	v_add_f32_e32 v13, v13, v20
	v_add_f32_e32 v14, v14, v23
	;; [unrolled: 1-line block ×3, first 2 shown]
	v_mov_b32_e32 v20, v22
	v_mov_b32_e32 v23, v25
	;; [unrolled: 1-line block ×3, first 2 shown]
	v_fmac_f32_e32 v27, 0x3df6dbef, v41
	v_fmac_f32_e32 v28, 0xbf7e222b, v43
	v_fma_f32 v29, v41, s12, -v29
	v_fmac_f32_e32 v30, 0x3f7e222b, v43
	ds_write_b64 v97, v[5:6]
	ds_write_b64 v97, v[7:8] offset:952
	v_add_u32_e32 v5, 0x400, v97
	v_fmac_f32_e32 v20, 0xbf52af12, v43
	v_fmac_f32_e32 v22, 0x3f52af12, v43
	;; [unrolled: 1-line block ×4, first 2 shown]
	v_fma_f32 v25, v41, s15, -v25
	v_fmac_f32_e32 v26, 0xbf6f5d39, v43
	v_add_f32_e32 v27, v27, v36
	v_add_f32_e32 v28, v28, v38
	;; [unrolled: 1-line block ×4, first 2 shown]
	ds_write2_b64 v5, v[11:12], v[15:16] offset0:110 offset1:229
	v_add_u32_e32 v5, 0x1400, v97
	s_movk_i32 s3, 0x1000
	s_movk_i32 s2, 0x2000
	v_add_f32_e32 v20, v20, v33
	v_add_f32_e32 v22, v22, v31
	;; [unrolled: 1-line block ×6, first 2 shown]
	v_add_u32_e32 v6, 0xc00, v97
	ds_write2_b64 v5, v[27:28], v[29:30] offset0:74 offset1:193
	v_add_u32_e32 v5, 0x1c00, v97
	v_add_u32_e32 v7, 0x2400, v97
	ds_write2_b64 v6, v[19:20], v[23:24] offset0:92 offset1:211
	ds_write2_b64 v5, v[25:26], v[21:22] offset0:56 offset1:175
	;; [unrolled: 1-line block ×3, first 2 shown]
	ds_write_b64 v97, v[9:10] offset:11424
	s_waitcnt lgkmcnt(0)
	s_barrier
	s_and_b64 exec, exec, s[0:1]
	s_cbranch_execz .LBB0_23
; %bb.22:
	global_load_dwordx2 v[7:8], v97, s[8:9]
	ds_read_b64 v[9:10], v97
	v_mad_u64_u32 v[11:12], s[0:1], s6, v92, 0
	v_mad_u64_u32 v[13:14], s[0:1], s4, v98, 0
	s_mov_b32 s0, 0x152e8015
	s_mov_b32 s1, 0x3f452e80
	v_mad_u64_u32 v[15:16], s[6:7], s7, v92, v[12:13]
	v_mov_b32_e32 v18, s11
	v_mad_u64_u32 v[16:17], s[6:7], s5, v98, v[14:15]
	s_mulk_i32 s5, 0x2d8
	s_mul_hi_u32 s6, s4, 0x2d8
	v_mov_b32_e32 v14, v16
	v_lshlrev_b64 v[13:14], 3, v[13:14]
	s_mulk_i32 s4, 0x2d8
	s_add_i32 s5, s6, s5
	s_waitcnt vmcnt(0) lgkmcnt(0)
	v_mul_f32_e32 v12, v10, v8
	v_mul_f32_e32 v8, v9, v8
	v_fmac_f32_e32 v12, v9, v7
	v_fma_f32 v9, v7, v10, -v8
	v_cvt_f64_f32_e32 v[7:8], v12
	v_cvt_f64_f32_e32 v[9:10], v9
	v_mov_b32_e32 v12, v15
	v_lshlrev_b64 v[11:12], 3, v[11:12]
	v_mul_f64 v[7:8], v[7:8], s[0:1]
	v_mul_f64 v[9:10], v[9:10], s[0:1]
	v_add_co_u32_e32 v11, vcc, s10, v11
	v_addc_co_u32_e32 v12, vcc, v18, v12, vcc
	v_add_co_u32_e32 v11, vcc, v11, v13
	v_cvt_f32_f64_e32 v7, v[7:8]
	v_cvt_f32_f64_e32 v8, v[9:10]
	v_addc_co_u32_e32 v12, vcc, v12, v14, vcc
	global_store_dwordx2 v[11:12], v[7:8], off
	global_load_dwordx2 v[13:14], v97, s[8:9] offset:728
	ds_read2_b64 v[7:10], v97 offset0:91 offset1:182
	v_add_co_u32_e32 v11, vcc, s4, v11
	s_waitcnt vmcnt(0) lgkmcnt(0)
	v_mul_f32_e32 v15, v8, v14
	v_mul_f32_e32 v14, v7, v14
	v_fmac_f32_e32 v15, v7, v13
	v_fma_f32 v13, v13, v8, -v14
	v_cvt_f64_f32_e32 v[7:8], v15
	v_cvt_f64_f32_e32 v[13:14], v13
	v_mov_b32_e32 v15, s5
	v_addc_co_u32_e32 v12, vcc, v12, v15, vcc
	v_mul_f64 v[7:8], v[7:8], s[0:1]
	v_mul_f64 v[13:14], v[13:14], s[0:1]
	v_cvt_f32_f64_e32 v7, v[7:8]
	v_cvt_f32_f64_e32 v8, v[13:14]
	global_store_dwordx2 v[11:12], v[7:8], off
	global_load_dwordx2 v[7:8], v97, s[8:9] offset:1456
	v_add_co_u32_e32 v11, vcc, s4, v11
	s_waitcnt vmcnt(0)
	v_mul_f32_e32 v13, v10, v8
	v_mul_f32_e32 v8, v9, v8
	v_fmac_f32_e32 v13, v9, v7
	v_fma_f32 v9, v7, v10, -v8
	v_cvt_f64_f32_e32 v[7:8], v13
	v_cvt_f64_f32_e32 v[9:10], v9
	v_mov_b32_e32 v13, s5
	v_addc_co_u32_e32 v12, vcc, v12, v13, vcc
	v_mul_f64 v[7:8], v[7:8], s[0:1]
	v_mul_f64 v[9:10], v[9:10], s[0:1]
	v_cvt_f32_f64_e32 v7, v[7:8]
	v_cvt_f32_f64_e32 v8, v[9:10]
	global_store_dwordx2 v[11:12], v[7:8], off
	global_load_dwordx2 v[13:14], v97, s[8:9] offset:2184
	ds_read2_b64 v[7:10], v4 offset0:17 offset1:108
	v_add_co_u32_e32 v11, vcc, s4, v11
	s_waitcnt vmcnt(0) lgkmcnt(0)
	v_mul_f32_e32 v4, v8, v14
	v_mul_f32_e32 v14, v7, v14
	v_fmac_f32_e32 v4, v7, v13
	v_fma_f32 v13, v13, v8, -v14
	v_cvt_f64_f32_e32 v[7:8], v4
	v_cvt_f64_f32_e32 v[13:14], v13
	v_mov_b32_e32 v4, s5
	v_addc_co_u32_e32 v12, vcc, v12, v4, vcc
	v_mul_f64 v[7:8], v[7:8], s[0:1]
	v_mul_f64 v[13:14], v[13:14], s[0:1]
	v_cvt_f32_f64_e32 v7, v[7:8]
	v_cvt_f32_f64_e32 v8, v[13:14]
	global_store_dwordx2 v[11:12], v[7:8], off
	global_load_dwordx2 v[7:8], v97, s[8:9] offset:2912
	s_waitcnt vmcnt(0)
	v_mul_f32_e32 v4, v10, v8
	v_mul_f32_e32 v8, v9, v8
	v_fmac_f32_e32 v4, v9, v7
	v_fma_f32 v9, v7, v10, -v8
	v_cvt_f64_f32_e32 v[7:8], v4
	v_cvt_f64_f32_e32 v[9:10], v9
	v_mov_b32_e32 v4, s5
	v_mul_f64 v[7:8], v[7:8], s[0:1]
	v_mul_f64 v[9:10], v[9:10], s[0:1]
	v_cvt_f32_f64_e32 v7, v[7:8]
	v_cvt_f32_f64_e32 v8, v[9:10]
	v_add_co_u32_e32 v10, vcc, s4, v11
	v_addc_co_u32_e32 v11, vcc, v12, v4, vcc
	global_store_dwordx2 v[10:11], v[7:8], off
	global_load_dwordx2 v[12:13], v97, s[8:9] offset:3640
	ds_read2_b64 v[6:9], v6 offset0:71 offset1:162
	v_add_co_u32_e32 v16, vcc, s8, v97
	s_waitcnt vmcnt(0) lgkmcnt(0)
	v_mul_f32_e32 v4, v7, v13
	v_mul_f32_e32 v13, v6, v13
	v_fmac_f32_e32 v4, v6, v12
	v_fma_f32 v12, v12, v7, -v13
	v_cvt_f64_f32_e32 v[6:7], v4
	v_cvt_f64_f32_e32 v[12:13], v12
	v_mov_b32_e32 v4, s9
	v_addc_co_u32_e32 v17, vcc, 0, v4, vcc
	v_mul_f64 v[6:7], v[6:7], s[0:1]
	v_mul_f64 v[12:13], v[12:13], s[0:1]
	v_add_co_u32_e32 v14, vcc, s3, v16
	v_addc_co_u32_e32 v15, vcc, 0, v17, vcc
	v_mov_b32_e32 v4, s5
	v_add_co_u32_e32 v10, vcc, s4, v10
	v_cvt_f32_f64_e32 v6, v[6:7]
	v_cvt_f32_f64_e32 v7, v[12:13]
	v_addc_co_u32_e32 v11, vcc, v11, v4, vcc
	global_store_dwordx2 v[10:11], v[6:7], off
	global_load_dwordx2 v[6:7], v[14:15], off offset:272
	v_add_co_u32_e32 v10, vcc, s4, v10
	s_waitcnt vmcnt(0)
	v_mul_f32_e32 v4, v9, v7
	v_mul_f32_e32 v7, v8, v7
	v_fmac_f32_e32 v4, v8, v6
	v_fma_f32 v8, v6, v9, -v7
	v_cvt_f64_f32_e32 v[6:7], v4
	v_cvt_f64_f32_e32 v[8:9], v8
	v_mov_b32_e32 v4, s5
	v_addc_co_u32_e32 v11, vcc, v11, v4, vcc
	v_mul_f64 v[6:7], v[6:7], s[0:1]
	v_mul_f64 v[8:9], v[8:9], s[0:1]
	v_cvt_f32_f64_e32 v6, v[6:7]
	v_cvt_f32_f64_e32 v7, v[8:9]
	global_store_dwordx2 v[10:11], v[6:7], off
	global_load_dwordx2 v[12:13], v[14:15], off offset:1000
	ds_read2_b64 v[6:9], v3 offset0:125 offset1:216
	s_waitcnt vmcnt(0) lgkmcnt(0)
	v_mul_f32_e32 v3, v7, v13
	v_mul_f32_e32 v4, v6, v13
	v_fmac_f32_e32 v3, v6, v12
	v_fma_f32 v6, v12, v7, -v4
	v_cvt_f64_f32_e32 v[3:4], v3
	v_cvt_f64_f32_e32 v[6:7], v6
	v_mov_b32_e32 v12, s5
	v_mul_f64 v[3:4], v[3:4], s[0:1]
	v_mul_f64 v[6:7], v[6:7], s[0:1]
	v_cvt_f32_f64_e32 v3, v[3:4]
	v_cvt_f32_f64_e32 v4, v[6:7]
	v_add_co_u32_e32 v6, vcc, s4, v10
	v_addc_co_u32_e32 v7, vcc, v11, v12, vcc
	global_store_dwordx2 v[6:7], v[3:4], off
	global_load_dwordx2 v[3:4], v[14:15], off offset:1728
	v_mov_b32_e32 v11, s5
	s_waitcnt vmcnt(0)
	v_mul_f32_e32 v10, v9, v4
	v_mul_f32_e32 v4, v8, v4
	v_fmac_f32_e32 v10, v8, v3
	v_fma_f32 v8, v3, v9, -v4
	v_cvt_f64_f32_e32 v[3:4], v10
	v_cvt_f64_f32_e32 v[8:9], v8
	v_add_co_u32_e32 v10, vcc, s4, v6
	v_mul_f64 v[3:4], v[3:4], s[0:1]
	v_mul_f64 v[8:9], v[8:9], s[0:1]
	v_addc_co_u32_e32 v11, vcc, v7, v11, vcc
	v_cvt_f32_f64_e32 v3, v[3:4]
	v_cvt_f32_f64_e32 v4, v[8:9]
	ds_read2_b64 v[6:9], v2 offset0:51 offset1:142
	global_store_dwordx2 v[10:11], v[3:4], off
	global_load_dwordx2 v[3:4], v[14:15], off offset:2456
	s_waitcnt vmcnt(0) lgkmcnt(0)
	v_mul_f32_e32 v2, v7, v4
	v_mul_f32_e32 v4, v6, v4
	v_fmac_f32_e32 v2, v6, v3
	v_fma_f32 v4, v3, v7, -v4
	v_cvt_f64_f32_e32 v[2:3], v2
	v_cvt_f64_f32_e32 v[6:7], v4
	v_mov_b32_e32 v4, s5
	v_mul_f64 v[2:3], v[2:3], s[0:1]
	v_mul_f64 v[6:7], v[6:7], s[0:1]
	v_cvt_f32_f64_e32 v2, v[2:3]
	v_cvt_f32_f64_e32 v3, v[6:7]
	v_add_co_u32_e32 v6, vcc, s4, v10
	v_addc_co_u32_e32 v7, vcc, v11, v4, vcc
	global_store_dwordx2 v[6:7], v[2:3], off
	global_load_dwordx2 v[2:3], v[14:15], off offset:3184
	v_add_co_u32_e32 v6, vcc, s4, v6
	s_waitcnt vmcnt(0)
	v_mul_f32_e32 v4, v9, v3
	v_mul_f32_e32 v3, v8, v3
	v_fmac_f32_e32 v4, v8, v2
	v_fma_f32 v8, v2, v9, -v3
	v_cvt_f64_f32_e32 v[2:3], v4
	v_cvt_f64_f32_e32 v[8:9], v8
	v_mov_b32_e32 v4, s5
	v_addc_co_u32_e32 v7, vcc, v7, v4, vcc
	v_mul_f64 v[2:3], v[2:3], s[0:1]
	v_mul_f64 v[8:9], v[8:9], s[0:1]
	v_cvt_f32_f64_e32 v2, v[2:3]
	v_cvt_f32_f64_e32 v3, v[8:9]
	global_store_dwordx2 v[6:7], v[2:3], off
	global_load_dwordx2 v[8:9], v[14:15], off offset:3912
	ds_read2_b64 v[2:5], v5 offset0:105 offset1:196
	s_waitcnt vmcnt(0) lgkmcnt(0)
	v_mul_f32_e32 v10, v3, v9
	v_mul_f32_e32 v9, v2, v9
	v_fmac_f32_e32 v10, v2, v8
	v_fma_f32 v8, v8, v3, -v9
	v_cvt_f64_f32_e32 v[2:3], v10
	v_cvt_f64_f32_e32 v[8:9], v8
	v_add_co_u32_e32 v10, vcc, s2, v16
	v_mul_f64 v[2:3], v[2:3], s[0:1]
	v_mul_f64 v[8:9], v[8:9], s[0:1]
	v_addc_co_u32_e32 v11, vcc, 0, v17, vcc
	v_add_co_u32_e32 v6, vcc, s4, v6
	v_addc_co_u32_e32 v7, vcc, v7, v12, vcc
	v_cvt_f32_f64_e32 v2, v[2:3]
	v_cvt_f32_f64_e32 v3, v[8:9]
	global_store_dwordx2 v[6:7], v[2:3], off
	global_load_dwordx2 v[2:3], v[10:11], off offset:544
	s_waitcnt vmcnt(0)
	v_mul_f32_e32 v8, v5, v3
	v_mul_f32_e32 v3, v4, v3
	v_fmac_f32_e32 v8, v4, v2
	v_fma_f32 v4, v2, v5, -v3
	v_cvt_f64_f32_e32 v[2:3], v8
	v_cvt_f64_f32_e32 v[4:5], v4
	v_mov_b32_e32 v8, s5
	v_mul_f64 v[2:3], v[2:3], s[0:1]
	v_mul_f64 v[4:5], v[4:5], s[0:1]
	v_cvt_f32_f64_e32 v2, v[2:3]
	v_cvt_f32_f64_e32 v3, v[4:5]
	v_add_co_u32_e32 v5, vcc, s4, v6
	v_addc_co_u32_e32 v6, vcc, v7, v8, vcc
	global_store_dwordx2 v[5:6], v[2:3], off
	global_load_dwordx2 v[7:8], v[10:11], off offset:1272
	ds_read2_b64 v[1:4], v1 offset0:159 offset1:250
	v_add_co_u32_e32 v5, vcc, s4, v5
	s_waitcnt vmcnt(0) lgkmcnt(0)
	v_mul_f32_e32 v9, v2, v8
	v_mul_f32_e32 v8, v1, v8
	v_fmac_f32_e32 v9, v1, v7
	v_fma_f32 v7, v7, v2, -v8
	v_cvt_f64_f32_e32 v[1:2], v9
	v_cvt_f64_f32_e32 v[7:8], v7
	v_mov_b32_e32 v9, s5
	v_addc_co_u32_e32 v6, vcc, v6, v9, vcc
	v_mul_f64 v[1:2], v[1:2], s[0:1]
	v_mul_f64 v[7:8], v[7:8], s[0:1]
	v_cvt_f32_f64_e32 v1, v[1:2]
	v_cvt_f32_f64_e32 v2, v[7:8]
	global_store_dwordx2 v[5:6], v[1:2], off
	global_load_dwordx2 v[1:2], v[10:11], off offset:2000
	s_waitcnt vmcnt(0)
	v_mul_f32_e32 v7, v4, v2
	v_mul_f32_e32 v2, v3, v2
	v_fmac_f32_e32 v7, v3, v1
	v_fma_f32 v3, v1, v4, -v2
	v_cvt_f64_f32_e32 v[1:2], v7
	v_cvt_f64_f32_e32 v[3:4], v3
	v_mov_b32_e32 v7, s5
	v_mul_f64 v[1:2], v[1:2], s[0:1]
	v_mul_f64 v[3:4], v[3:4], s[0:1]
	v_cvt_f32_f64_e32 v1, v[1:2]
	v_cvt_f32_f64_e32 v2, v[3:4]
	v_add_co_u32_e32 v4, vcc, s4, v5
	v_addc_co_u32_e32 v5, vcc, v6, v7, vcc
	global_store_dwordx2 v[4:5], v[1:2], off
	global_load_dwordx2 v[6:7], v[10:11], off offset:2728
	ds_read2_b64 v[0:3], v0 offset0:85 offset1:176
	v_add_co_u32_e32 v4, vcc, s4, v4
	s_waitcnt vmcnt(0) lgkmcnt(0)
	v_mul_f32_e32 v8, v1, v7
	v_mul_f32_e32 v7, v0, v7
	v_fmac_f32_e32 v8, v0, v6
	v_fma_f32 v6, v6, v1, -v7
	v_cvt_f64_f32_e32 v[0:1], v8
	v_cvt_f64_f32_e32 v[6:7], v6
	v_mov_b32_e32 v8, s5
	v_addc_co_u32_e32 v5, vcc, v5, v8, vcc
	v_mul_f64 v[0:1], v[0:1], s[0:1]
	v_mul_f64 v[6:7], v[6:7], s[0:1]
	v_cvt_f32_f64_e32 v0, v[0:1]
	v_cvt_f32_f64_e32 v1, v[6:7]
	global_store_dwordx2 v[4:5], v[0:1], off
	global_load_dwordx2 v[0:1], v[10:11], off offset:3456
	s_waitcnt vmcnt(0)
	v_mul_f32_e32 v6, v3, v1
	v_mul_f32_e32 v1, v2, v1
	v_fmac_f32_e32 v6, v2, v0
	v_fma_f32 v2, v0, v3, -v1
	v_cvt_f64_f32_e32 v[0:1], v6
	v_cvt_f64_f32_e32 v[2:3], v2
	v_mov_b32_e32 v6, s5
	v_mul_f64 v[0:1], v[0:1], s[0:1]
	v_mul_f64 v[2:3], v[2:3], s[0:1]
	v_cvt_f32_f64_e32 v0, v[0:1]
	v_cvt_f32_f64_e32 v1, v[2:3]
	v_add_co_u32_e32 v2, vcc, s4, v4
	v_addc_co_u32_e32 v3, vcc, v5, v6, vcc
	global_store_dwordx2 v[2:3], v[0:1], off
.LBB0_23:
	s_endpgm
	.section	.rodata,"a",@progbits
	.p2align	6, 0x0
	.amdhsa_kernel bluestein_single_back_len1547_dim1_sp_op_CI_CI
		.amdhsa_group_segment_fixed_size 12376
		.amdhsa_private_segment_fixed_size 0
		.amdhsa_kernarg_size 104
		.amdhsa_user_sgpr_count 6
		.amdhsa_user_sgpr_private_segment_buffer 1
		.amdhsa_user_sgpr_dispatch_ptr 0
		.amdhsa_user_sgpr_queue_ptr 0
		.amdhsa_user_sgpr_kernarg_segment_ptr 1
		.amdhsa_user_sgpr_dispatch_id 0
		.amdhsa_user_sgpr_flat_scratch_init 0
		.amdhsa_user_sgpr_private_segment_size 0
		.amdhsa_uses_dynamic_stack 0
		.amdhsa_system_sgpr_private_segment_wavefront_offset 0
		.amdhsa_system_sgpr_workgroup_id_x 1
		.amdhsa_system_sgpr_workgroup_id_y 0
		.amdhsa_system_sgpr_workgroup_id_z 0
		.amdhsa_system_sgpr_workgroup_info 0
		.amdhsa_system_vgpr_workitem_id 0
		.amdhsa_next_free_vgpr 250
		.amdhsa_next_free_sgpr 22
		.amdhsa_reserve_vcc 1
		.amdhsa_reserve_flat_scratch 0
		.amdhsa_float_round_mode_32 0
		.amdhsa_float_round_mode_16_64 0
		.amdhsa_float_denorm_mode_32 3
		.amdhsa_float_denorm_mode_16_64 3
		.amdhsa_dx10_clamp 1
		.amdhsa_ieee_mode 1
		.amdhsa_fp16_overflow 0
		.amdhsa_exception_fp_ieee_invalid_op 0
		.amdhsa_exception_fp_denorm_src 0
		.amdhsa_exception_fp_ieee_div_zero 0
		.amdhsa_exception_fp_ieee_overflow 0
		.amdhsa_exception_fp_ieee_underflow 0
		.amdhsa_exception_fp_ieee_inexact 0
		.amdhsa_exception_int_div_zero 0
	.end_amdhsa_kernel
	.text
.Lfunc_end0:
	.size	bluestein_single_back_len1547_dim1_sp_op_CI_CI, .Lfunc_end0-bluestein_single_back_len1547_dim1_sp_op_CI_CI
                                        ; -- End function
	.section	.AMDGPU.csdata,"",@progbits
; Kernel info:
; codeLenInByte = 23840
; NumSgprs: 26
; NumVgprs: 250
; ScratchSize: 0
; MemoryBound: 0
; FloatMode: 240
; IeeeMode: 1
; LDSByteSize: 12376 bytes/workgroup (compile time only)
; SGPRBlocks: 3
; VGPRBlocks: 62
; NumSGPRsForWavesPerEU: 26
; NumVGPRsForWavesPerEU: 250
; Occupancy: 1
; WaveLimiterHint : 1
; COMPUTE_PGM_RSRC2:SCRATCH_EN: 0
; COMPUTE_PGM_RSRC2:USER_SGPR: 6
; COMPUTE_PGM_RSRC2:TRAP_HANDLER: 0
; COMPUTE_PGM_RSRC2:TGID_X_EN: 1
; COMPUTE_PGM_RSRC2:TGID_Y_EN: 0
; COMPUTE_PGM_RSRC2:TGID_Z_EN: 0
; COMPUTE_PGM_RSRC2:TIDIG_COMP_CNT: 0
	.type	__hip_cuid_e63bd4dcd9d4e0cf,@object ; @__hip_cuid_e63bd4dcd9d4e0cf
	.section	.bss,"aw",@nobits
	.globl	__hip_cuid_e63bd4dcd9d4e0cf
__hip_cuid_e63bd4dcd9d4e0cf:
	.byte	0                               ; 0x0
	.size	__hip_cuid_e63bd4dcd9d4e0cf, 1

	.ident	"AMD clang version 19.0.0git (https://github.com/RadeonOpenCompute/llvm-project roc-6.4.0 25133 c7fe45cf4b819c5991fe208aaa96edf142730f1d)"
	.section	".note.GNU-stack","",@progbits
	.addrsig
	.addrsig_sym __hip_cuid_e63bd4dcd9d4e0cf
	.amdgpu_metadata
---
amdhsa.kernels:
  - .args:
      - .actual_access:  read_only
        .address_space:  global
        .offset:         0
        .size:           8
        .value_kind:     global_buffer
      - .actual_access:  read_only
        .address_space:  global
        .offset:         8
        .size:           8
        .value_kind:     global_buffer
      - .actual_access:  read_only
        .address_space:  global
        .offset:         16
        .size:           8
        .value_kind:     global_buffer
      - .actual_access:  read_only
        .address_space:  global
        .offset:         24
        .size:           8
        .value_kind:     global_buffer
      - .actual_access:  read_only
        .address_space:  global
        .offset:         32
        .size:           8
        .value_kind:     global_buffer
      - .offset:         40
        .size:           8
        .value_kind:     by_value
      - .address_space:  global
        .offset:         48
        .size:           8
        .value_kind:     global_buffer
      - .address_space:  global
        .offset:         56
        .size:           8
        .value_kind:     global_buffer
      - .address_space:  global
        .offset:         64
        .size:           8
        .value_kind:     global_buffer
      - .address_space:  global
        .offset:         72
        .size:           8
        .value_kind:     global_buffer
      - .offset:         80
        .size:           4
        .value_kind:     by_value
      - .address_space:  global
        .offset:         88
        .size:           8
        .value_kind:     global_buffer
      - .address_space:  global
        .offset:         96
        .size:           8
        .value_kind:     global_buffer
    .group_segment_fixed_size: 12376
    .kernarg_segment_align: 8
    .kernarg_segment_size: 104
    .language:       OpenCL C
    .language_version:
      - 2
      - 0
    .max_flat_workgroup_size: 119
    .name:           bluestein_single_back_len1547_dim1_sp_op_CI_CI
    .private_segment_fixed_size: 0
    .sgpr_count:     26
    .sgpr_spill_count: 0
    .symbol:         bluestein_single_back_len1547_dim1_sp_op_CI_CI.kd
    .uniform_work_group_size: 1
    .uses_dynamic_stack: false
    .vgpr_count:     250
    .vgpr_spill_count: 0
    .wavefront_size: 64
amdhsa.target:   amdgcn-amd-amdhsa--gfx906
amdhsa.version:
  - 1
  - 2
...

	.end_amdgpu_metadata
